;; amdgpu-corpus repo=ROCm/rocPRIM kind=compiled arch=gfx1100 opt=O3
	.text
	.amdgcn_target "amdgcn-amd-amdhsa--gfx1100"
	.amdhsa_code_object_version 6
	.section	.text._Z17warp_store_kernelILj1024ELj4ELj1ELN7rocprim17ROCPRIM_304000_NS17warp_store_methodE3E12hip_bfloat16EvPT3_S5_,"axG",@progbits,_Z17warp_store_kernelILj1024ELj4ELj1ELN7rocprim17ROCPRIM_304000_NS17warp_store_methodE3E12hip_bfloat16EvPT3_S5_,comdat
	.protected	_Z17warp_store_kernelILj1024ELj4ELj1ELN7rocprim17ROCPRIM_304000_NS17warp_store_methodE3E12hip_bfloat16EvPT3_S5_ ; -- Begin function _Z17warp_store_kernelILj1024ELj4ELj1ELN7rocprim17ROCPRIM_304000_NS17warp_store_methodE3E12hip_bfloat16EvPT3_S5_
	.globl	_Z17warp_store_kernelILj1024ELj4ELj1ELN7rocprim17ROCPRIM_304000_NS17warp_store_methodE3E12hip_bfloat16EvPT3_S5_
	.p2align	8
	.type	_Z17warp_store_kernelILj1024ELj4ELj1ELN7rocprim17ROCPRIM_304000_NS17warp_store_methodE3E12hip_bfloat16EvPT3_S5_,@function
_Z17warp_store_kernelILj1024ELj4ELj1ELN7rocprim17ROCPRIM_304000_NS17warp_store_methodE3E12hip_bfloat16EvPT3_S5_: ; @_Z17warp_store_kernelILj1024ELj4ELj1ELN7rocprim17ROCPRIM_304000_NS17warp_store_methodE3E12hip_bfloat16EvPT3_S5_
; %bb.0:
	s_load_b128 s[0:3], s[0:1], 0x0
	v_lshlrev_b32_e32 v2, 3, v0
	s_waitcnt lgkmcnt(0)
	global_load_b64 v[0:1], v2, s[0:1]
	s_waitcnt vmcnt(0)
	ds_store_b64 v2, v[0:1]
	; wave barrier
	ds_load_b64 v[0:1], v2
	s_waitcnt lgkmcnt(0)
	global_store_b64 v2, v[0:1], s[2:3]
	s_nop 0
	s_sendmsg sendmsg(MSG_DEALLOC_VGPRS)
	s_endpgm
	.section	.rodata,"a",@progbits
	.p2align	6, 0x0
	.amdhsa_kernel _Z17warp_store_kernelILj1024ELj4ELj1ELN7rocprim17ROCPRIM_304000_NS17warp_store_methodE3E12hip_bfloat16EvPT3_S5_
		.amdhsa_group_segment_fixed_size 8192
		.amdhsa_private_segment_fixed_size 0
		.amdhsa_kernarg_size 16
		.amdhsa_user_sgpr_count 15
		.amdhsa_user_sgpr_dispatch_ptr 0
		.amdhsa_user_sgpr_queue_ptr 0
		.amdhsa_user_sgpr_kernarg_segment_ptr 1
		.amdhsa_user_sgpr_dispatch_id 0
		.amdhsa_user_sgpr_private_segment_size 0
		.amdhsa_wavefront_size32 1
		.amdhsa_uses_dynamic_stack 0
		.amdhsa_enable_private_segment 0
		.amdhsa_system_sgpr_workgroup_id_x 1
		.amdhsa_system_sgpr_workgroup_id_y 0
		.amdhsa_system_sgpr_workgroup_id_z 0
		.amdhsa_system_sgpr_workgroup_info 0
		.amdhsa_system_vgpr_workitem_id 0
		.amdhsa_next_free_vgpr 3
		.amdhsa_next_free_sgpr 4
		.amdhsa_reserve_vcc 0
		.amdhsa_float_round_mode_32 0
		.amdhsa_float_round_mode_16_64 0
		.amdhsa_float_denorm_mode_32 3
		.amdhsa_float_denorm_mode_16_64 3
		.amdhsa_dx10_clamp 1
		.amdhsa_ieee_mode 1
		.amdhsa_fp16_overflow 0
		.amdhsa_workgroup_processor_mode 1
		.amdhsa_memory_ordered 1
		.amdhsa_forward_progress 0
		.amdhsa_shared_vgpr_count 0
		.amdhsa_exception_fp_ieee_invalid_op 0
		.amdhsa_exception_fp_denorm_src 0
		.amdhsa_exception_fp_ieee_div_zero 0
		.amdhsa_exception_fp_ieee_overflow 0
		.amdhsa_exception_fp_ieee_underflow 0
		.amdhsa_exception_fp_ieee_inexact 0
		.amdhsa_exception_int_div_zero 0
	.end_amdhsa_kernel
	.section	.text._Z17warp_store_kernelILj1024ELj4ELj1ELN7rocprim17ROCPRIM_304000_NS17warp_store_methodE3E12hip_bfloat16EvPT3_S5_,"axG",@progbits,_Z17warp_store_kernelILj1024ELj4ELj1ELN7rocprim17ROCPRIM_304000_NS17warp_store_methodE3E12hip_bfloat16EvPT3_S5_,comdat
.Lfunc_end0:
	.size	_Z17warp_store_kernelILj1024ELj4ELj1ELN7rocprim17ROCPRIM_304000_NS17warp_store_methodE3E12hip_bfloat16EvPT3_S5_, .Lfunc_end0-_Z17warp_store_kernelILj1024ELj4ELj1ELN7rocprim17ROCPRIM_304000_NS17warp_store_methodE3E12hip_bfloat16EvPT3_S5_
                                        ; -- End function
	.section	.AMDGPU.csdata,"",@progbits
; Kernel info:
; codeLenInByte = 68
; NumSgprs: 4
; NumVgprs: 3
; ScratchSize: 0
; MemoryBound: 0
; FloatMode: 240
; IeeeMode: 1
; LDSByteSize: 8192 bytes/workgroup (compile time only)
; SGPRBlocks: 0
; VGPRBlocks: 0
; NumSGPRsForWavesPerEU: 4
; NumVGPRsForWavesPerEU: 3
; Occupancy: 16
; WaveLimiterHint : 0
; COMPUTE_PGM_RSRC2:SCRATCH_EN: 0
; COMPUTE_PGM_RSRC2:USER_SGPR: 15
; COMPUTE_PGM_RSRC2:TRAP_HANDLER: 0
; COMPUTE_PGM_RSRC2:TGID_X_EN: 1
; COMPUTE_PGM_RSRC2:TGID_Y_EN: 0
; COMPUTE_PGM_RSRC2:TGID_Z_EN: 0
; COMPUTE_PGM_RSRC2:TIDIG_COMP_CNT: 0
	.section	.text._Z17warp_store_kernelILj1024ELj4ELj1ELN7rocprim17ROCPRIM_304000_NS17warp_store_methodE2E12hip_bfloat16EvPT3_S5_,"axG",@progbits,_Z17warp_store_kernelILj1024ELj4ELj1ELN7rocprim17ROCPRIM_304000_NS17warp_store_methodE2E12hip_bfloat16EvPT3_S5_,comdat
	.protected	_Z17warp_store_kernelILj1024ELj4ELj1ELN7rocprim17ROCPRIM_304000_NS17warp_store_methodE2E12hip_bfloat16EvPT3_S5_ ; -- Begin function _Z17warp_store_kernelILj1024ELj4ELj1ELN7rocprim17ROCPRIM_304000_NS17warp_store_methodE2E12hip_bfloat16EvPT3_S5_
	.globl	_Z17warp_store_kernelILj1024ELj4ELj1ELN7rocprim17ROCPRIM_304000_NS17warp_store_methodE2E12hip_bfloat16EvPT3_S5_
	.p2align	8
	.type	_Z17warp_store_kernelILj1024ELj4ELj1ELN7rocprim17ROCPRIM_304000_NS17warp_store_methodE2E12hip_bfloat16EvPT3_S5_,@function
_Z17warp_store_kernelILj1024ELj4ELj1ELN7rocprim17ROCPRIM_304000_NS17warp_store_methodE2E12hip_bfloat16EvPT3_S5_: ; @_Z17warp_store_kernelILj1024ELj4ELj1ELN7rocprim17ROCPRIM_304000_NS17warp_store_methodE2E12hip_bfloat16EvPT3_S5_
; %bb.0:
	s_load_b128 s[0:3], s[0:1], 0x0
	v_lshlrev_b32_e32 v2, 3, v0
	s_waitcnt lgkmcnt(0)
	global_load_b64 v[0:1], v2, s[0:1]
	s_waitcnt vmcnt(0)
	v_and_b32_e32 v3, 0xffff0000, v1
	v_and_b32_e32 v1, 0xffff, v1
	s_delay_alu instid0(VALU_DEP_1)
	v_or_b32_e32 v1, v1, v3
	global_store_b64 v2, v[0:1], s[2:3]
	s_nop 0
	s_sendmsg sendmsg(MSG_DEALLOC_VGPRS)
	s_endpgm
	.section	.rodata,"a",@progbits
	.p2align	6, 0x0
	.amdhsa_kernel _Z17warp_store_kernelILj1024ELj4ELj1ELN7rocprim17ROCPRIM_304000_NS17warp_store_methodE2E12hip_bfloat16EvPT3_S5_
		.amdhsa_group_segment_fixed_size 0
		.amdhsa_private_segment_fixed_size 0
		.amdhsa_kernarg_size 16
		.amdhsa_user_sgpr_count 15
		.amdhsa_user_sgpr_dispatch_ptr 0
		.amdhsa_user_sgpr_queue_ptr 0
		.amdhsa_user_sgpr_kernarg_segment_ptr 1
		.amdhsa_user_sgpr_dispatch_id 0
		.amdhsa_user_sgpr_private_segment_size 0
		.amdhsa_wavefront_size32 1
		.amdhsa_uses_dynamic_stack 0
		.amdhsa_enable_private_segment 0
		.amdhsa_system_sgpr_workgroup_id_x 1
		.amdhsa_system_sgpr_workgroup_id_y 0
		.amdhsa_system_sgpr_workgroup_id_z 0
		.amdhsa_system_sgpr_workgroup_info 0
		.amdhsa_system_vgpr_workitem_id 0
		.amdhsa_next_free_vgpr 4
		.amdhsa_next_free_sgpr 4
		.amdhsa_reserve_vcc 0
		.amdhsa_float_round_mode_32 0
		.amdhsa_float_round_mode_16_64 0
		.amdhsa_float_denorm_mode_32 3
		.amdhsa_float_denorm_mode_16_64 3
		.amdhsa_dx10_clamp 1
		.amdhsa_ieee_mode 1
		.amdhsa_fp16_overflow 0
		.amdhsa_workgroup_processor_mode 1
		.amdhsa_memory_ordered 1
		.amdhsa_forward_progress 0
		.amdhsa_shared_vgpr_count 0
		.amdhsa_exception_fp_ieee_invalid_op 0
		.amdhsa_exception_fp_denorm_src 0
		.amdhsa_exception_fp_ieee_div_zero 0
		.amdhsa_exception_fp_ieee_overflow 0
		.amdhsa_exception_fp_ieee_underflow 0
		.amdhsa_exception_fp_ieee_inexact 0
		.amdhsa_exception_int_div_zero 0
	.end_amdhsa_kernel
	.section	.text._Z17warp_store_kernelILj1024ELj4ELj1ELN7rocprim17ROCPRIM_304000_NS17warp_store_methodE2E12hip_bfloat16EvPT3_S5_,"axG",@progbits,_Z17warp_store_kernelILj1024ELj4ELj1ELN7rocprim17ROCPRIM_304000_NS17warp_store_methodE2E12hip_bfloat16EvPT3_S5_,comdat
.Lfunc_end1:
	.size	_Z17warp_store_kernelILj1024ELj4ELj1ELN7rocprim17ROCPRIM_304000_NS17warp_store_methodE2E12hip_bfloat16EvPT3_S5_, .Lfunc_end1-_Z17warp_store_kernelILj1024ELj4ELj1ELN7rocprim17ROCPRIM_304000_NS17warp_store_methodE2E12hip_bfloat16EvPT3_S5_
                                        ; -- End function
	.section	.AMDGPU.csdata,"",@progbits
; Kernel info:
; codeLenInByte = 72
; NumSgprs: 4
; NumVgprs: 4
; ScratchSize: 0
; MemoryBound: 0
; FloatMode: 240
; IeeeMode: 1
; LDSByteSize: 0 bytes/workgroup (compile time only)
; SGPRBlocks: 0
; VGPRBlocks: 0
; NumSGPRsForWavesPerEU: 4
; NumVGPRsForWavesPerEU: 4
; Occupancy: 16
; WaveLimiterHint : 0
; COMPUTE_PGM_RSRC2:SCRATCH_EN: 0
; COMPUTE_PGM_RSRC2:USER_SGPR: 15
; COMPUTE_PGM_RSRC2:TRAP_HANDLER: 0
; COMPUTE_PGM_RSRC2:TGID_X_EN: 1
; COMPUTE_PGM_RSRC2:TGID_Y_EN: 0
; COMPUTE_PGM_RSRC2:TGID_Z_EN: 0
; COMPUTE_PGM_RSRC2:TIDIG_COMP_CNT: 0
	.section	.text._Z17warp_store_kernelILj1024ELj4ELj1ELN7rocprim17ROCPRIM_304000_NS17warp_store_methodE1E12hip_bfloat16EvPT3_S5_,"axG",@progbits,_Z17warp_store_kernelILj1024ELj4ELj1ELN7rocprim17ROCPRIM_304000_NS17warp_store_methodE1E12hip_bfloat16EvPT3_S5_,comdat
	.protected	_Z17warp_store_kernelILj1024ELj4ELj1ELN7rocprim17ROCPRIM_304000_NS17warp_store_methodE1E12hip_bfloat16EvPT3_S5_ ; -- Begin function _Z17warp_store_kernelILj1024ELj4ELj1ELN7rocprim17ROCPRIM_304000_NS17warp_store_methodE1E12hip_bfloat16EvPT3_S5_
	.globl	_Z17warp_store_kernelILj1024ELj4ELj1ELN7rocprim17ROCPRIM_304000_NS17warp_store_methodE1E12hip_bfloat16EvPT3_S5_
	.p2align	8
	.type	_Z17warp_store_kernelILj1024ELj4ELj1ELN7rocprim17ROCPRIM_304000_NS17warp_store_methodE1E12hip_bfloat16EvPT3_S5_,@function
_Z17warp_store_kernelILj1024ELj4ELj1ELN7rocprim17ROCPRIM_304000_NS17warp_store_methodE1E12hip_bfloat16EvPT3_S5_: ; @_Z17warp_store_kernelILj1024ELj4ELj1ELN7rocprim17ROCPRIM_304000_NS17warp_store_methodE1E12hip_bfloat16EvPT3_S5_
; %bb.0:
	s_load_b128 s[0:3], s[0:1], 0x0
	v_lshlrev_b32_e32 v2, 3, v0
	s_waitcnt lgkmcnt(0)
	global_load_b64 v[0:1], v2, s[0:1]
	s_waitcnt vmcnt(0)
	global_store_b64 v2, v[0:1], s[2:3]
	s_nop 0
	s_sendmsg sendmsg(MSG_DEALLOC_VGPRS)
	s_endpgm
	.section	.rodata,"a",@progbits
	.p2align	6, 0x0
	.amdhsa_kernel _Z17warp_store_kernelILj1024ELj4ELj1ELN7rocprim17ROCPRIM_304000_NS17warp_store_methodE1E12hip_bfloat16EvPT3_S5_
		.amdhsa_group_segment_fixed_size 0
		.amdhsa_private_segment_fixed_size 0
		.amdhsa_kernarg_size 16
		.amdhsa_user_sgpr_count 15
		.amdhsa_user_sgpr_dispatch_ptr 0
		.amdhsa_user_sgpr_queue_ptr 0
		.amdhsa_user_sgpr_kernarg_segment_ptr 1
		.amdhsa_user_sgpr_dispatch_id 0
		.amdhsa_user_sgpr_private_segment_size 0
		.amdhsa_wavefront_size32 1
		.amdhsa_uses_dynamic_stack 0
		.amdhsa_enable_private_segment 0
		.amdhsa_system_sgpr_workgroup_id_x 1
		.amdhsa_system_sgpr_workgroup_id_y 0
		.amdhsa_system_sgpr_workgroup_id_z 0
		.amdhsa_system_sgpr_workgroup_info 0
		.amdhsa_system_vgpr_workitem_id 0
		.amdhsa_next_free_vgpr 3
		.amdhsa_next_free_sgpr 4
		.amdhsa_reserve_vcc 0
		.amdhsa_float_round_mode_32 0
		.amdhsa_float_round_mode_16_64 0
		.amdhsa_float_denorm_mode_32 3
		.amdhsa_float_denorm_mode_16_64 3
		.amdhsa_dx10_clamp 1
		.amdhsa_ieee_mode 1
		.amdhsa_fp16_overflow 0
		.amdhsa_workgroup_processor_mode 1
		.amdhsa_memory_ordered 1
		.amdhsa_forward_progress 0
		.amdhsa_shared_vgpr_count 0
		.amdhsa_exception_fp_ieee_invalid_op 0
		.amdhsa_exception_fp_denorm_src 0
		.amdhsa_exception_fp_ieee_div_zero 0
		.amdhsa_exception_fp_ieee_overflow 0
		.amdhsa_exception_fp_ieee_underflow 0
		.amdhsa_exception_fp_ieee_inexact 0
		.amdhsa_exception_int_div_zero 0
	.end_amdhsa_kernel
	.section	.text._Z17warp_store_kernelILj1024ELj4ELj1ELN7rocprim17ROCPRIM_304000_NS17warp_store_methodE1E12hip_bfloat16EvPT3_S5_,"axG",@progbits,_Z17warp_store_kernelILj1024ELj4ELj1ELN7rocprim17ROCPRIM_304000_NS17warp_store_methodE1E12hip_bfloat16EvPT3_S5_,comdat
.Lfunc_end2:
	.size	_Z17warp_store_kernelILj1024ELj4ELj1ELN7rocprim17ROCPRIM_304000_NS17warp_store_methodE1E12hip_bfloat16EvPT3_S5_, .Lfunc_end2-_Z17warp_store_kernelILj1024ELj4ELj1ELN7rocprim17ROCPRIM_304000_NS17warp_store_methodE1E12hip_bfloat16EvPT3_S5_
                                        ; -- End function
	.section	.AMDGPU.csdata,"",@progbits
; Kernel info:
; codeLenInByte = 48
; NumSgprs: 4
; NumVgprs: 3
; ScratchSize: 0
; MemoryBound: 0
; FloatMode: 240
; IeeeMode: 1
; LDSByteSize: 0 bytes/workgroup (compile time only)
; SGPRBlocks: 0
; VGPRBlocks: 0
; NumSGPRsForWavesPerEU: 4
; NumVGPRsForWavesPerEU: 3
; Occupancy: 16
; WaveLimiterHint : 0
; COMPUTE_PGM_RSRC2:SCRATCH_EN: 0
; COMPUTE_PGM_RSRC2:USER_SGPR: 15
; COMPUTE_PGM_RSRC2:TRAP_HANDLER: 0
; COMPUTE_PGM_RSRC2:TGID_X_EN: 1
; COMPUTE_PGM_RSRC2:TGID_Y_EN: 0
; COMPUTE_PGM_RSRC2:TGID_Z_EN: 0
; COMPUTE_PGM_RSRC2:TIDIG_COMP_CNT: 0
	.section	.text._Z17warp_store_kernelILj1024ELj4ELj1ELN7rocprim17ROCPRIM_304000_NS17warp_store_methodE0E12hip_bfloat16EvPT3_S5_,"axG",@progbits,_Z17warp_store_kernelILj1024ELj4ELj1ELN7rocprim17ROCPRIM_304000_NS17warp_store_methodE0E12hip_bfloat16EvPT3_S5_,comdat
	.protected	_Z17warp_store_kernelILj1024ELj4ELj1ELN7rocprim17ROCPRIM_304000_NS17warp_store_methodE0E12hip_bfloat16EvPT3_S5_ ; -- Begin function _Z17warp_store_kernelILj1024ELj4ELj1ELN7rocprim17ROCPRIM_304000_NS17warp_store_methodE0E12hip_bfloat16EvPT3_S5_
	.globl	_Z17warp_store_kernelILj1024ELj4ELj1ELN7rocprim17ROCPRIM_304000_NS17warp_store_methodE0E12hip_bfloat16EvPT3_S5_
	.p2align	8
	.type	_Z17warp_store_kernelILj1024ELj4ELj1ELN7rocprim17ROCPRIM_304000_NS17warp_store_methodE0E12hip_bfloat16EvPT3_S5_,@function
_Z17warp_store_kernelILj1024ELj4ELj1ELN7rocprim17ROCPRIM_304000_NS17warp_store_methodE0E12hip_bfloat16EvPT3_S5_: ; @_Z17warp_store_kernelILj1024ELj4ELj1ELN7rocprim17ROCPRIM_304000_NS17warp_store_methodE0E12hip_bfloat16EvPT3_S5_
; %bb.0:
	s_load_b128 s[0:3], s[0:1], 0x0
	v_lshlrev_b32_e32 v2, 3, v0
	s_waitcnt lgkmcnt(0)
	global_load_b64 v[0:1], v2, s[0:1]
	s_waitcnt vmcnt(0)
	global_store_b64 v2, v[0:1], s[2:3]
	s_nop 0
	s_sendmsg sendmsg(MSG_DEALLOC_VGPRS)
	s_endpgm
	.section	.rodata,"a",@progbits
	.p2align	6, 0x0
	.amdhsa_kernel _Z17warp_store_kernelILj1024ELj4ELj1ELN7rocprim17ROCPRIM_304000_NS17warp_store_methodE0E12hip_bfloat16EvPT3_S5_
		.amdhsa_group_segment_fixed_size 0
		.amdhsa_private_segment_fixed_size 0
		.amdhsa_kernarg_size 16
		.amdhsa_user_sgpr_count 15
		.amdhsa_user_sgpr_dispatch_ptr 0
		.amdhsa_user_sgpr_queue_ptr 0
		.amdhsa_user_sgpr_kernarg_segment_ptr 1
		.amdhsa_user_sgpr_dispatch_id 0
		.amdhsa_user_sgpr_private_segment_size 0
		.amdhsa_wavefront_size32 1
		.amdhsa_uses_dynamic_stack 0
		.amdhsa_enable_private_segment 0
		.amdhsa_system_sgpr_workgroup_id_x 1
		.amdhsa_system_sgpr_workgroup_id_y 0
		.amdhsa_system_sgpr_workgroup_id_z 0
		.amdhsa_system_sgpr_workgroup_info 0
		.amdhsa_system_vgpr_workitem_id 0
		.amdhsa_next_free_vgpr 3
		.amdhsa_next_free_sgpr 4
		.amdhsa_reserve_vcc 0
		.amdhsa_float_round_mode_32 0
		.amdhsa_float_round_mode_16_64 0
		.amdhsa_float_denorm_mode_32 3
		.amdhsa_float_denorm_mode_16_64 3
		.amdhsa_dx10_clamp 1
		.amdhsa_ieee_mode 1
		.amdhsa_fp16_overflow 0
		.amdhsa_workgroup_processor_mode 1
		.amdhsa_memory_ordered 1
		.amdhsa_forward_progress 0
		.amdhsa_shared_vgpr_count 0
		.amdhsa_exception_fp_ieee_invalid_op 0
		.amdhsa_exception_fp_denorm_src 0
		.amdhsa_exception_fp_ieee_div_zero 0
		.amdhsa_exception_fp_ieee_overflow 0
		.amdhsa_exception_fp_ieee_underflow 0
		.amdhsa_exception_fp_ieee_inexact 0
		.amdhsa_exception_int_div_zero 0
	.end_amdhsa_kernel
	.section	.text._Z17warp_store_kernelILj1024ELj4ELj1ELN7rocprim17ROCPRIM_304000_NS17warp_store_methodE0E12hip_bfloat16EvPT3_S5_,"axG",@progbits,_Z17warp_store_kernelILj1024ELj4ELj1ELN7rocprim17ROCPRIM_304000_NS17warp_store_methodE0E12hip_bfloat16EvPT3_S5_,comdat
.Lfunc_end3:
	.size	_Z17warp_store_kernelILj1024ELj4ELj1ELN7rocprim17ROCPRIM_304000_NS17warp_store_methodE0E12hip_bfloat16EvPT3_S5_, .Lfunc_end3-_Z17warp_store_kernelILj1024ELj4ELj1ELN7rocprim17ROCPRIM_304000_NS17warp_store_methodE0E12hip_bfloat16EvPT3_S5_
                                        ; -- End function
	.section	.AMDGPU.csdata,"",@progbits
; Kernel info:
; codeLenInByte = 48
; NumSgprs: 4
; NumVgprs: 3
; ScratchSize: 0
; MemoryBound: 0
; FloatMode: 240
; IeeeMode: 1
; LDSByteSize: 0 bytes/workgroup (compile time only)
; SGPRBlocks: 0
; VGPRBlocks: 0
; NumSGPRsForWavesPerEU: 4
; NumVGPRsForWavesPerEU: 3
; Occupancy: 16
; WaveLimiterHint : 0
; COMPUTE_PGM_RSRC2:SCRATCH_EN: 0
; COMPUTE_PGM_RSRC2:USER_SGPR: 15
; COMPUTE_PGM_RSRC2:TRAP_HANDLER: 0
; COMPUTE_PGM_RSRC2:TGID_X_EN: 1
; COMPUTE_PGM_RSRC2:TGID_Y_EN: 0
; COMPUTE_PGM_RSRC2:TGID_Z_EN: 0
; COMPUTE_PGM_RSRC2:TIDIG_COMP_CNT: 0
	.section	.text._Z17warp_store_kernelILj1024ELj4ELj1ELN7rocprim17ROCPRIM_304000_NS17warp_store_methodE3EdEvPT3_S4_,"axG",@progbits,_Z17warp_store_kernelILj1024ELj4ELj1ELN7rocprim17ROCPRIM_304000_NS17warp_store_methodE3EdEvPT3_S4_,comdat
	.protected	_Z17warp_store_kernelILj1024ELj4ELj1ELN7rocprim17ROCPRIM_304000_NS17warp_store_methodE3EdEvPT3_S4_ ; -- Begin function _Z17warp_store_kernelILj1024ELj4ELj1ELN7rocprim17ROCPRIM_304000_NS17warp_store_methodE3EdEvPT3_S4_
	.globl	_Z17warp_store_kernelILj1024ELj4ELj1ELN7rocprim17ROCPRIM_304000_NS17warp_store_methodE3EdEvPT3_S4_
	.p2align	8
	.type	_Z17warp_store_kernelILj1024ELj4ELj1ELN7rocprim17ROCPRIM_304000_NS17warp_store_methodE3EdEvPT3_S4_,@function
_Z17warp_store_kernelILj1024ELj4ELj1ELN7rocprim17ROCPRIM_304000_NS17warp_store_methodE3EdEvPT3_S4_: ; @_Z17warp_store_kernelILj1024ELj4ELj1ELN7rocprim17ROCPRIM_304000_NS17warp_store_methodE3EdEvPT3_S4_
; %bb.0:
	s_load_b128 s[0:3], s[0:1], 0x0
	v_lshlrev_b32_e32 v8, 5, v0
	s_waitcnt lgkmcnt(0)
	s_clause 0x1
	global_load_b128 v[0:3], v8, s[0:1]
	global_load_b128 v[4:7], v8, s[0:1] offset:16
	s_waitcnt vmcnt(1)
	ds_store_b128 v8, v[0:3]
	s_waitcnt vmcnt(0)
	ds_store_b128 v8, v[4:7] offset:16
	; wave barrier
	ds_load_b128 v[0:3], v8
	ds_load_b128 v[4:7], v8 offset:16
	s_waitcnt lgkmcnt(1)
	global_store_b128 v8, v[0:3], s[2:3]
	s_waitcnt lgkmcnt(0)
	global_store_b128 v8, v[4:7], s[2:3] offset:16
	s_nop 0
	s_sendmsg sendmsg(MSG_DEALLOC_VGPRS)
	s_endpgm
	.section	.rodata,"a",@progbits
	.p2align	6, 0x0
	.amdhsa_kernel _Z17warp_store_kernelILj1024ELj4ELj1ELN7rocprim17ROCPRIM_304000_NS17warp_store_methodE3EdEvPT3_S4_
		.amdhsa_group_segment_fixed_size 32768
		.amdhsa_private_segment_fixed_size 0
		.amdhsa_kernarg_size 16
		.amdhsa_user_sgpr_count 15
		.amdhsa_user_sgpr_dispatch_ptr 0
		.amdhsa_user_sgpr_queue_ptr 0
		.amdhsa_user_sgpr_kernarg_segment_ptr 1
		.amdhsa_user_sgpr_dispatch_id 0
		.amdhsa_user_sgpr_private_segment_size 0
		.amdhsa_wavefront_size32 1
		.amdhsa_uses_dynamic_stack 0
		.amdhsa_enable_private_segment 0
		.amdhsa_system_sgpr_workgroup_id_x 1
		.amdhsa_system_sgpr_workgroup_id_y 0
		.amdhsa_system_sgpr_workgroup_id_z 0
		.amdhsa_system_sgpr_workgroup_info 0
		.amdhsa_system_vgpr_workitem_id 0
		.amdhsa_next_free_vgpr 9
		.amdhsa_next_free_sgpr 4
		.amdhsa_reserve_vcc 0
		.amdhsa_float_round_mode_32 0
		.amdhsa_float_round_mode_16_64 0
		.amdhsa_float_denorm_mode_32 3
		.amdhsa_float_denorm_mode_16_64 3
		.amdhsa_dx10_clamp 1
		.amdhsa_ieee_mode 1
		.amdhsa_fp16_overflow 0
		.amdhsa_workgroup_processor_mode 1
		.amdhsa_memory_ordered 1
		.amdhsa_forward_progress 0
		.amdhsa_shared_vgpr_count 0
		.amdhsa_exception_fp_ieee_invalid_op 0
		.amdhsa_exception_fp_denorm_src 0
		.amdhsa_exception_fp_ieee_div_zero 0
		.amdhsa_exception_fp_ieee_overflow 0
		.amdhsa_exception_fp_ieee_underflow 0
		.amdhsa_exception_fp_ieee_inexact 0
		.amdhsa_exception_int_div_zero 0
	.end_amdhsa_kernel
	.section	.text._Z17warp_store_kernelILj1024ELj4ELj1ELN7rocprim17ROCPRIM_304000_NS17warp_store_methodE3EdEvPT3_S4_,"axG",@progbits,_Z17warp_store_kernelILj1024ELj4ELj1ELN7rocprim17ROCPRIM_304000_NS17warp_store_methodE3EdEvPT3_S4_,comdat
.Lfunc_end4:
	.size	_Z17warp_store_kernelILj1024ELj4ELj1ELN7rocprim17ROCPRIM_304000_NS17warp_store_methodE3EdEvPT3_S4_, .Lfunc_end4-_Z17warp_store_kernelILj1024ELj4ELj1ELN7rocprim17ROCPRIM_304000_NS17warp_store_methodE3EdEvPT3_S4_
                                        ; -- End function
	.section	.AMDGPU.csdata,"",@progbits
; Kernel info:
; codeLenInByte = 112
; NumSgprs: 4
; NumVgprs: 9
; ScratchSize: 0
; MemoryBound: 1
; FloatMode: 240
; IeeeMode: 1
; LDSByteSize: 32768 bytes/workgroup (compile time only)
; SGPRBlocks: 0
; VGPRBlocks: 1
; NumSGPRsForWavesPerEU: 4
; NumVGPRsForWavesPerEU: 9
; Occupancy: 16
; WaveLimiterHint : 1
; COMPUTE_PGM_RSRC2:SCRATCH_EN: 0
; COMPUTE_PGM_RSRC2:USER_SGPR: 15
; COMPUTE_PGM_RSRC2:TRAP_HANDLER: 0
; COMPUTE_PGM_RSRC2:TGID_X_EN: 1
; COMPUTE_PGM_RSRC2:TGID_Y_EN: 0
; COMPUTE_PGM_RSRC2:TGID_Z_EN: 0
; COMPUTE_PGM_RSRC2:TIDIG_COMP_CNT: 0
	.section	.text._Z17warp_store_kernelILj1024ELj4ELj1ELN7rocprim17ROCPRIM_304000_NS17warp_store_methodE2EdEvPT3_S4_,"axG",@progbits,_Z17warp_store_kernelILj1024ELj4ELj1ELN7rocprim17ROCPRIM_304000_NS17warp_store_methodE2EdEvPT3_S4_,comdat
	.protected	_Z17warp_store_kernelILj1024ELj4ELj1ELN7rocprim17ROCPRIM_304000_NS17warp_store_methodE2EdEvPT3_S4_ ; -- Begin function _Z17warp_store_kernelILj1024ELj4ELj1ELN7rocprim17ROCPRIM_304000_NS17warp_store_methodE2EdEvPT3_S4_
	.globl	_Z17warp_store_kernelILj1024ELj4ELj1ELN7rocprim17ROCPRIM_304000_NS17warp_store_methodE2EdEvPT3_S4_
	.p2align	8
	.type	_Z17warp_store_kernelILj1024ELj4ELj1ELN7rocprim17ROCPRIM_304000_NS17warp_store_methodE2EdEvPT3_S4_,@function
_Z17warp_store_kernelILj1024ELj4ELj1ELN7rocprim17ROCPRIM_304000_NS17warp_store_methodE2EdEvPT3_S4_: ; @_Z17warp_store_kernelILj1024ELj4ELj1ELN7rocprim17ROCPRIM_304000_NS17warp_store_methodE2EdEvPT3_S4_
; %bb.0:
	s_load_b128 s[0:3], s[0:1], 0x0
	v_lshlrev_b32_e32 v8, 5, v0
	s_waitcnt lgkmcnt(0)
	s_clause 0x1
	global_load_b128 v[0:3], v8, s[0:1]
	global_load_b128 v[4:7], v8, s[0:1] offset:16
	s_waitcnt vmcnt(1)
	global_store_b128 v8, v[0:3], s[2:3]
	s_waitcnt vmcnt(0)
	global_store_b128 v8, v[4:7], s[2:3] offset:16
	s_nop 0
	s_sendmsg sendmsg(MSG_DEALLOC_VGPRS)
	s_endpgm
	.section	.rodata,"a",@progbits
	.p2align	6, 0x0
	.amdhsa_kernel _Z17warp_store_kernelILj1024ELj4ELj1ELN7rocprim17ROCPRIM_304000_NS17warp_store_methodE2EdEvPT3_S4_
		.amdhsa_group_segment_fixed_size 0
		.amdhsa_private_segment_fixed_size 0
		.amdhsa_kernarg_size 16
		.amdhsa_user_sgpr_count 15
		.amdhsa_user_sgpr_dispatch_ptr 0
		.amdhsa_user_sgpr_queue_ptr 0
		.amdhsa_user_sgpr_kernarg_segment_ptr 1
		.amdhsa_user_sgpr_dispatch_id 0
		.amdhsa_user_sgpr_private_segment_size 0
		.amdhsa_wavefront_size32 1
		.amdhsa_uses_dynamic_stack 0
		.amdhsa_enable_private_segment 0
		.amdhsa_system_sgpr_workgroup_id_x 1
		.amdhsa_system_sgpr_workgroup_id_y 0
		.amdhsa_system_sgpr_workgroup_id_z 0
		.amdhsa_system_sgpr_workgroup_info 0
		.amdhsa_system_vgpr_workitem_id 0
		.amdhsa_next_free_vgpr 9
		.amdhsa_next_free_sgpr 4
		.amdhsa_reserve_vcc 0
		.amdhsa_float_round_mode_32 0
		.amdhsa_float_round_mode_16_64 0
		.amdhsa_float_denorm_mode_32 3
		.amdhsa_float_denorm_mode_16_64 3
		.amdhsa_dx10_clamp 1
		.amdhsa_ieee_mode 1
		.amdhsa_fp16_overflow 0
		.amdhsa_workgroup_processor_mode 1
		.amdhsa_memory_ordered 1
		.amdhsa_forward_progress 0
		.amdhsa_shared_vgpr_count 0
		.amdhsa_exception_fp_ieee_invalid_op 0
		.amdhsa_exception_fp_denorm_src 0
		.amdhsa_exception_fp_ieee_div_zero 0
		.amdhsa_exception_fp_ieee_overflow 0
		.amdhsa_exception_fp_ieee_underflow 0
		.amdhsa_exception_fp_ieee_inexact 0
		.amdhsa_exception_int_div_zero 0
	.end_amdhsa_kernel
	.section	.text._Z17warp_store_kernelILj1024ELj4ELj1ELN7rocprim17ROCPRIM_304000_NS17warp_store_methodE2EdEvPT3_S4_,"axG",@progbits,_Z17warp_store_kernelILj1024ELj4ELj1ELN7rocprim17ROCPRIM_304000_NS17warp_store_methodE2EdEvPT3_S4_,comdat
.Lfunc_end5:
	.size	_Z17warp_store_kernelILj1024ELj4ELj1ELN7rocprim17ROCPRIM_304000_NS17warp_store_methodE2EdEvPT3_S4_, .Lfunc_end5-_Z17warp_store_kernelILj1024ELj4ELj1ELN7rocprim17ROCPRIM_304000_NS17warp_store_methodE2EdEvPT3_S4_
                                        ; -- End function
	.section	.AMDGPU.csdata,"",@progbits
; Kernel info:
; codeLenInByte = 72
; NumSgprs: 4
; NumVgprs: 9
; ScratchSize: 0
; MemoryBound: 1
; FloatMode: 240
; IeeeMode: 1
; LDSByteSize: 0 bytes/workgroup (compile time only)
; SGPRBlocks: 0
; VGPRBlocks: 1
; NumSGPRsForWavesPerEU: 4
; NumVGPRsForWavesPerEU: 9
; Occupancy: 16
; WaveLimiterHint : 1
; COMPUTE_PGM_RSRC2:SCRATCH_EN: 0
; COMPUTE_PGM_RSRC2:USER_SGPR: 15
; COMPUTE_PGM_RSRC2:TRAP_HANDLER: 0
; COMPUTE_PGM_RSRC2:TGID_X_EN: 1
; COMPUTE_PGM_RSRC2:TGID_Y_EN: 0
; COMPUTE_PGM_RSRC2:TGID_Z_EN: 0
; COMPUTE_PGM_RSRC2:TIDIG_COMP_CNT: 0
	.section	.text._Z17warp_store_kernelILj1024ELj4ELj1ELN7rocprim17ROCPRIM_304000_NS17warp_store_methodE1EdEvPT3_S4_,"axG",@progbits,_Z17warp_store_kernelILj1024ELj4ELj1ELN7rocprim17ROCPRIM_304000_NS17warp_store_methodE1EdEvPT3_S4_,comdat
	.protected	_Z17warp_store_kernelILj1024ELj4ELj1ELN7rocprim17ROCPRIM_304000_NS17warp_store_methodE1EdEvPT3_S4_ ; -- Begin function _Z17warp_store_kernelILj1024ELj4ELj1ELN7rocprim17ROCPRIM_304000_NS17warp_store_methodE1EdEvPT3_S4_
	.globl	_Z17warp_store_kernelILj1024ELj4ELj1ELN7rocprim17ROCPRIM_304000_NS17warp_store_methodE1EdEvPT3_S4_
	.p2align	8
	.type	_Z17warp_store_kernelILj1024ELj4ELj1ELN7rocprim17ROCPRIM_304000_NS17warp_store_methodE1EdEvPT3_S4_,@function
_Z17warp_store_kernelILj1024ELj4ELj1ELN7rocprim17ROCPRIM_304000_NS17warp_store_methodE1EdEvPT3_S4_: ; @_Z17warp_store_kernelILj1024ELj4ELj1ELN7rocprim17ROCPRIM_304000_NS17warp_store_methodE1EdEvPT3_S4_
; %bb.0:
	s_load_b128 s[0:3], s[0:1], 0x0
	v_lshlrev_b32_e32 v8, 5, v0
	s_waitcnt lgkmcnt(0)
	s_clause 0x1
	global_load_b128 v[0:3], v8, s[0:1]
	global_load_b128 v[4:7], v8, s[0:1] offset:16
	s_waitcnt vmcnt(1)
	global_store_b128 v8, v[0:3], s[2:3]
	s_waitcnt vmcnt(0)
	global_store_b128 v8, v[4:7], s[2:3] offset:16
	s_nop 0
	s_sendmsg sendmsg(MSG_DEALLOC_VGPRS)
	s_endpgm
	.section	.rodata,"a",@progbits
	.p2align	6, 0x0
	.amdhsa_kernel _Z17warp_store_kernelILj1024ELj4ELj1ELN7rocprim17ROCPRIM_304000_NS17warp_store_methodE1EdEvPT3_S4_
		.amdhsa_group_segment_fixed_size 0
		.amdhsa_private_segment_fixed_size 0
		.amdhsa_kernarg_size 16
		.amdhsa_user_sgpr_count 15
		.amdhsa_user_sgpr_dispatch_ptr 0
		.amdhsa_user_sgpr_queue_ptr 0
		.amdhsa_user_sgpr_kernarg_segment_ptr 1
		.amdhsa_user_sgpr_dispatch_id 0
		.amdhsa_user_sgpr_private_segment_size 0
		.amdhsa_wavefront_size32 1
		.amdhsa_uses_dynamic_stack 0
		.amdhsa_enable_private_segment 0
		.amdhsa_system_sgpr_workgroup_id_x 1
		.amdhsa_system_sgpr_workgroup_id_y 0
		.amdhsa_system_sgpr_workgroup_id_z 0
		.amdhsa_system_sgpr_workgroup_info 0
		.amdhsa_system_vgpr_workitem_id 0
		.amdhsa_next_free_vgpr 9
		.amdhsa_next_free_sgpr 4
		.amdhsa_reserve_vcc 0
		.amdhsa_float_round_mode_32 0
		.amdhsa_float_round_mode_16_64 0
		.amdhsa_float_denorm_mode_32 3
		.amdhsa_float_denorm_mode_16_64 3
		.amdhsa_dx10_clamp 1
		.amdhsa_ieee_mode 1
		.amdhsa_fp16_overflow 0
		.amdhsa_workgroup_processor_mode 1
		.amdhsa_memory_ordered 1
		.amdhsa_forward_progress 0
		.amdhsa_shared_vgpr_count 0
		.amdhsa_exception_fp_ieee_invalid_op 0
		.amdhsa_exception_fp_denorm_src 0
		.amdhsa_exception_fp_ieee_div_zero 0
		.amdhsa_exception_fp_ieee_overflow 0
		.amdhsa_exception_fp_ieee_underflow 0
		.amdhsa_exception_fp_ieee_inexact 0
		.amdhsa_exception_int_div_zero 0
	.end_amdhsa_kernel
	.section	.text._Z17warp_store_kernelILj1024ELj4ELj1ELN7rocprim17ROCPRIM_304000_NS17warp_store_methodE1EdEvPT3_S4_,"axG",@progbits,_Z17warp_store_kernelILj1024ELj4ELj1ELN7rocprim17ROCPRIM_304000_NS17warp_store_methodE1EdEvPT3_S4_,comdat
.Lfunc_end6:
	.size	_Z17warp_store_kernelILj1024ELj4ELj1ELN7rocprim17ROCPRIM_304000_NS17warp_store_methodE1EdEvPT3_S4_, .Lfunc_end6-_Z17warp_store_kernelILj1024ELj4ELj1ELN7rocprim17ROCPRIM_304000_NS17warp_store_methodE1EdEvPT3_S4_
                                        ; -- End function
	.section	.AMDGPU.csdata,"",@progbits
; Kernel info:
; codeLenInByte = 72
; NumSgprs: 4
; NumVgprs: 9
; ScratchSize: 0
; MemoryBound: 1
; FloatMode: 240
; IeeeMode: 1
; LDSByteSize: 0 bytes/workgroup (compile time only)
; SGPRBlocks: 0
; VGPRBlocks: 1
; NumSGPRsForWavesPerEU: 4
; NumVGPRsForWavesPerEU: 9
; Occupancy: 16
; WaveLimiterHint : 1
; COMPUTE_PGM_RSRC2:SCRATCH_EN: 0
; COMPUTE_PGM_RSRC2:USER_SGPR: 15
; COMPUTE_PGM_RSRC2:TRAP_HANDLER: 0
; COMPUTE_PGM_RSRC2:TGID_X_EN: 1
; COMPUTE_PGM_RSRC2:TGID_Y_EN: 0
; COMPUTE_PGM_RSRC2:TGID_Z_EN: 0
; COMPUTE_PGM_RSRC2:TIDIG_COMP_CNT: 0
	.section	.text._Z17warp_store_kernelILj1024ELj4ELj1ELN7rocprim17ROCPRIM_304000_NS17warp_store_methodE0EdEvPT3_S4_,"axG",@progbits,_Z17warp_store_kernelILj1024ELj4ELj1ELN7rocprim17ROCPRIM_304000_NS17warp_store_methodE0EdEvPT3_S4_,comdat
	.protected	_Z17warp_store_kernelILj1024ELj4ELj1ELN7rocprim17ROCPRIM_304000_NS17warp_store_methodE0EdEvPT3_S4_ ; -- Begin function _Z17warp_store_kernelILj1024ELj4ELj1ELN7rocprim17ROCPRIM_304000_NS17warp_store_methodE0EdEvPT3_S4_
	.globl	_Z17warp_store_kernelILj1024ELj4ELj1ELN7rocprim17ROCPRIM_304000_NS17warp_store_methodE0EdEvPT3_S4_
	.p2align	8
	.type	_Z17warp_store_kernelILj1024ELj4ELj1ELN7rocprim17ROCPRIM_304000_NS17warp_store_methodE0EdEvPT3_S4_,@function
_Z17warp_store_kernelILj1024ELj4ELj1ELN7rocprim17ROCPRIM_304000_NS17warp_store_methodE0EdEvPT3_S4_: ; @_Z17warp_store_kernelILj1024ELj4ELj1ELN7rocprim17ROCPRIM_304000_NS17warp_store_methodE0EdEvPT3_S4_
; %bb.0:
	s_load_b128 s[0:3], s[0:1], 0x0
	v_lshlrev_b32_e32 v8, 5, v0
	s_waitcnt lgkmcnt(0)
	s_clause 0x1
	global_load_b128 v[0:3], v8, s[0:1]
	global_load_b128 v[4:7], v8, s[0:1] offset:16
	s_waitcnt vmcnt(1)
	global_store_b128 v8, v[0:3], s[2:3]
	s_waitcnt vmcnt(0)
	global_store_b128 v8, v[4:7], s[2:3] offset:16
	s_nop 0
	s_sendmsg sendmsg(MSG_DEALLOC_VGPRS)
	s_endpgm
	.section	.rodata,"a",@progbits
	.p2align	6, 0x0
	.amdhsa_kernel _Z17warp_store_kernelILj1024ELj4ELj1ELN7rocprim17ROCPRIM_304000_NS17warp_store_methodE0EdEvPT3_S4_
		.amdhsa_group_segment_fixed_size 0
		.amdhsa_private_segment_fixed_size 0
		.amdhsa_kernarg_size 16
		.amdhsa_user_sgpr_count 15
		.amdhsa_user_sgpr_dispatch_ptr 0
		.amdhsa_user_sgpr_queue_ptr 0
		.amdhsa_user_sgpr_kernarg_segment_ptr 1
		.amdhsa_user_sgpr_dispatch_id 0
		.amdhsa_user_sgpr_private_segment_size 0
		.amdhsa_wavefront_size32 1
		.amdhsa_uses_dynamic_stack 0
		.amdhsa_enable_private_segment 0
		.amdhsa_system_sgpr_workgroup_id_x 1
		.amdhsa_system_sgpr_workgroup_id_y 0
		.amdhsa_system_sgpr_workgroup_id_z 0
		.amdhsa_system_sgpr_workgroup_info 0
		.amdhsa_system_vgpr_workitem_id 0
		.amdhsa_next_free_vgpr 9
		.amdhsa_next_free_sgpr 4
		.amdhsa_reserve_vcc 0
		.amdhsa_float_round_mode_32 0
		.amdhsa_float_round_mode_16_64 0
		.amdhsa_float_denorm_mode_32 3
		.amdhsa_float_denorm_mode_16_64 3
		.amdhsa_dx10_clamp 1
		.amdhsa_ieee_mode 1
		.amdhsa_fp16_overflow 0
		.amdhsa_workgroup_processor_mode 1
		.amdhsa_memory_ordered 1
		.amdhsa_forward_progress 0
		.amdhsa_shared_vgpr_count 0
		.amdhsa_exception_fp_ieee_invalid_op 0
		.amdhsa_exception_fp_denorm_src 0
		.amdhsa_exception_fp_ieee_div_zero 0
		.amdhsa_exception_fp_ieee_overflow 0
		.amdhsa_exception_fp_ieee_underflow 0
		.amdhsa_exception_fp_ieee_inexact 0
		.amdhsa_exception_int_div_zero 0
	.end_amdhsa_kernel
	.section	.text._Z17warp_store_kernelILj1024ELj4ELj1ELN7rocprim17ROCPRIM_304000_NS17warp_store_methodE0EdEvPT3_S4_,"axG",@progbits,_Z17warp_store_kernelILj1024ELj4ELj1ELN7rocprim17ROCPRIM_304000_NS17warp_store_methodE0EdEvPT3_S4_,comdat
.Lfunc_end7:
	.size	_Z17warp_store_kernelILj1024ELj4ELj1ELN7rocprim17ROCPRIM_304000_NS17warp_store_methodE0EdEvPT3_S4_, .Lfunc_end7-_Z17warp_store_kernelILj1024ELj4ELj1ELN7rocprim17ROCPRIM_304000_NS17warp_store_methodE0EdEvPT3_S4_
                                        ; -- End function
	.section	.AMDGPU.csdata,"",@progbits
; Kernel info:
; codeLenInByte = 72
; NumSgprs: 4
; NumVgprs: 9
; ScratchSize: 0
; MemoryBound: 1
; FloatMode: 240
; IeeeMode: 1
; LDSByteSize: 0 bytes/workgroup (compile time only)
; SGPRBlocks: 0
; VGPRBlocks: 1
; NumSGPRsForWavesPerEU: 4
; NumVGPRsForWavesPerEU: 9
; Occupancy: 16
; WaveLimiterHint : 1
; COMPUTE_PGM_RSRC2:SCRATCH_EN: 0
; COMPUTE_PGM_RSRC2:USER_SGPR: 15
; COMPUTE_PGM_RSRC2:TRAP_HANDLER: 0
; COMPUTE_PGM_RSRC2:TGID_X_EN: 1
; COMPUTE_PGM_RSRC2:TGID_Y_EN: 0
; COMPUTE_PGM_RSRC2:TGID_Z_EN: 0
; COMPUTE_PGM_RSRC2:TIDIG_COMP_CNT: 0
	.section	.text._Z17warp_store_kernelILj1024ELj4ELj1ELN7rocprim17ROCPRIM_304000_NS17warp_store_methodE3EfEvPT3_S4_,"axG",@progbits,_Z17warp_store_kernelILj1024ELj4ELj1ELN7rocprim17ROCPRIM_304000_NS17warp_store_methodE3EfEvPT3_S4_,comdat
	.protected	_Z17warp_store_kernelILj1024ELj4ELj1ELN7rocprim17ROCPRIM_304000_NS17warp_store_methodE3EfEvPT3_S4_ ; -- Begin function _Z17warp_store_kernelILj1024ELj4ELj1ELN7rocprim17ROCPRIM_304000_NS17warp_store_methodE3EfEvPT3_S4_
	.globl	_Z17warp_store_kernelILj1024ELj4ELj1ELN7rocprim17ROCPRIM_304000_NS17warp_store_methodE3EfEvPT3_S4_
	.p2align	8
	.type	_Z17warp_store_kernelILj1024ELj4ELj1ELN7rocprim17ROCPRIM_304000_NS17warp_store_methodE3EfEvPT3_S4_,@function
_Z17warp_store_kernelILj1024ELj4ELj1ELN7rocprim17ROCPRIM_304000_NS17warp_store_methodE3EfEvPT3_S4_: ; @_Z17warp_store_kernelILj1024ELj4ELj1ELN7rocprim17ROCPRIM_304000_NS17warp_store_methodE3EfEvPT3_S4_
; %bb.0:
	s_load_b128 s[0:3], s[0:1], 0x0
	v_lshlrev_b32_e32 v4, 4, v0
	s_waitcnt lgkmcnt(0)
	global_load_b128 v[0:3], v4, s[0:1]
	s_waitcnt vmcnt(0)
	ds_store_b128 v4, v[0:3]
	; wave barrier
	ds_load_b128 v[0:3], v4
	s_waitcnt lgkmcnt(0)
	global_store_b128 v4, v[0:3], s[2:3]
	s_nop 0
	s_sendmsg sendmsg(MSG_DEALLOC_VGPRS)
	s_endpgm
	.section	.rodata,"a",@progbits
	.p2align	6, 0x0
	.amdhsa_kernel _Z17warp_store_kernelILj1024ELj4ELj1ELN7rocprim17ROCPRIM_304000_NS17warp_store_methodE3EfEvPT3_S4_
		.amdhsa_group_segment_fixed_size 16384
		.amdhsa_private_segment_fixed_size 0
		.amdhsa_kernarg_size 16
		.amdhsa_user_sgpr_count 15
		.amdhsa_user_sgpr_dispatch_ptr 0
		.amdhsa_user_sgpr_queue_ptr 0
		.amdhsa_user_sgpr_kernarg_segment_ptr 1
		.amdhsa_user_sgpr_dispatch_id 0
		.amdhsa_user_sgpr_private_segment_size 0
		.amdhsa_wavefront_size32 1
		.amdhsa_uses_dynamic_stack 0
		.amdhsa_enable_private_segment 0
		.amdhsa_system_sgpr_workgroup_id_x 1
		.amdhsa_system_sgpr_workgroup_id_y 0
		.amdhsa_system_sgpr_workgroup_id_z 0
		.amdhsa_system_sgpr_workgroup_info 0
		.amdhsa_system_vgpr_workitem_id 0
		.amdhsa_next_free_vgpr 5
		.amdhsa_next_free_sgpr 4
		.amdhsa_reserve_vcc 0
		.amdhsa_float_round_mode_32 0
		.amdhsa_float_round_mode_16_64 0
		.amdhsa_float_denorm_mode_32 3
		.amdhsa_float_denorm_mode_16_64 3
		.amdhsa_dx10_clamp 1
		.amdhsa_ieee_mode 1
		.amdhsa_fp16_overflow 0
		.amdhsa_workgroup_processor_mode 1
		.amdhsa_memory_ordered 1
		.amdhsa_forward_progress 0
		.amdhsa_shared_vgpr_count 0
		.amdhsa_exception_fp_ieee_invalid_op 0
		.amdhsa_exception_fp_denorm_src 0
		.amdhsa_exception_fp_ieee_div_zero 0
		.amdhsa_exception_fp_ieee_overflow 0
		.amdhsa_exception_fp_ieee_underflow 0
		.amdhsa_exception_fp_ieee_inexact 0
		.amdhsa_exception_int_div_zero 0
	.end_amdhsa_kernel
	.section	.text._Z17warp_store_kernelILj1024ELj4ELj1ELN7rocprim17ROCPRIM_304000_NS17warp_store_methodE3EfEvPT3_S4_,"axG",@progbits,_Z17warp_store_kernelILj1024ELj4ELj1ELN7rocprim17ROCPRIM_304000_NS17warp_store_methodE3EfEvPT3_S4_,comdat
.Lfunc_end8:
	.size	_Z17warp_store_kernelILj1024ELj4ELj1ELN7rocprim17ROCPRIM_304000_NS17warp_store_methodE3EfEvPT3_S4_, .Lfunc_end8-_Z17warp_store_kernelILj1024ELj4ELj1ELN7rocprim17ROCPRIM_304000_NS17warp_store_methodE3EfEvPT3_S4_
                                        ; -- End function
	.section	.AMDGPU.csdata,"",@progbits
; Kernel info:
; codeLenInByte = 68
; NumSgprs: 4
; NumVgprs: 5
; ScratchSize: 0
; MemoryBound: 0
; FloatMode: 240
; IeeeMode: 1
; LDSByteSize: 16384 bytes/workgroup (compile time only)
; SGPRBlocks: 0
; VGPRBlocks: 0
; NumSGPRsForWavesPerEU: 4
; NumVGPRsForWavesPerEU: 5
; Occupancy: 16
; WaveLimiterHint : 0
; COMPUTE_PGM_RSRC2:SCRATCH_EN: 0
; COMPUTE_PGM_RSRC2:USER_SGPR: 15
; COMPUTE_PGM_RSRC2:TRAP_HANDLER: 0
; COMPUTE_PGM_RSRC2:TGID_X_EN: 1
; COMPUTE_PGM_RSRC2:TGID_Y_EN: 0
; COMPUTE_PGM_RSRC2:TGID_Z_EN: 0
; COMPUTE_PGM_RSRC2:TIDIG_COMP_CNT: 0
	.section	.text._Z17warp_store_kernelILj1024ELj4ELj1ELN7rocprim17ROCPRIM_304000_NS17warp_store_methodE2EfEvPT3_S4_,"axG",@progbits,_Z17warp_store_kernelILj1024ELj4ELj1ELN7rocprim17ROCPRIM_304000_NS17warp_store_methodE2EfEvPT3_S4_,comdat
	.protected	_Z17warp_store_kernelILj1024ELj4ELj1ELN7rocprim17ROCPRIM_304000_NS17warp_store_methodE2EfEvPT3_S4_ ; -- Begin function _Z17warp_store_kernelILj1024ELj4ELj1ELN7rocprim17ROCPRIM_304000_NS17warp_store_methodE2EfEvPT3_S4_
	.globl	_Z17warp_store_kernelILj1024ELj4ELj1ELN7rocprim17ROCPRIM_304000_NS17warp_store_methodE2EfEvPT3_S4_
	.p2align	8
	.type	_Z17warp_store_kernelILj1024ELj4ELj1ELN7rocprim17ROCPRIM_304000_NS17warp_store_methodE2EfEvPT3_S4_,@function
_Z17warp_store_kernelILj1024ELj4ELj1ELN7rocprim17ROCPRIM_304000_NS17warp_store_methodE2EfEvPT3_S4_: ; @_Z17warp_store_kernelILj1024ELj4ELj1ELN7rocprim17ROCPRIM_304000_NS17warp_store_methodE2EfEvPT3_S4_
; %bb.0:
	s_load_b128 s[0:3], s[0:1], 0x0
	v_lshlrev_b32_e32 v4, 4, v0
	s_waitcnt lgkmcnt(0)
	global_load_b128 v[0:3], v4, s[0:1]
	s_waitcnt vmcnt(0)
	global_store_b128 v4, v[0:3], s[2:3]
	s_nop 0
	s_sendmsg sendmsg(MSG_DEALLOC_VGPRS)
	s_endpgm
	.section	.rodata,"a",@progbits
	.p2align	6, 0x0
	.amdhsa_kernel _Z17warp_store_kernelILj1024ELj4ELj1ELN7rocprim17ROCPRIM_304000_NS17warp_store_methodE2EfEvPT3_S4_
		.amdhsa_group_segment_fixed_size 0
		.amdhsa_private_segment_fixed_size 0
		.amdhsa_kernarg_size 16
		.amdhsa_user_sgpr_count 15
		.amdhsa_user_sgpr_dispatch_ptr 0
		.amdhsa_user_sgpr_queue_ptr 0
		.amdhsa_user_sgpr_kernarg_segment_ptr 1
		.amdhsa_user_sgpr_dispatch_id 0
		.amdhsa_user_sgpr_private_segment_size 0
		.amdhsa_wavefront_size32 1
		.amdhsa_uses_dynamic_stack 0
		.amdhsa_enable_private_segment 0
		.amdhsa_system_sgpr_workgroup_id_x 1
		.amdhsa_system_sgpr_workgroup_id_y 0
		.amdhsa_system_sgpr_workgroup_id_z 0
		.amdhsa_system_sgpr_workgroup_info 0
		.amdhsa_system_vgpr_workitem_id 0
		.amdhsa_next_free_vgpr 5
		.amdhsa_next_free_sgpr 4
		.amdhsa_reserve_vcc 0
		.amdhsa_float_round_mode_32 0
		.amdhsa_float_round_mode_16_64 0
		.amdhsa_float_denorm_mode_32 3
		.amdhsa_float_denorm_mode_16_64 3
		.amdhsa_dx10_clamp 1
		.amdhsa_ieee_mode 1
		.amdhsa_fp16_overflow 0
		.amdhsa_workgroup_processor_mode 1
		.amdhsa_memory_ordered 1
		.amdhsa_forward_progress 0
		.amdhsa_shared_vgpr_count 0
		.amdhsa_exception_fp_ieee_invalid_op 0
		.amdhsa_exception_fp_denorm_src 0
		.amdhsa_exception_fp_ieee_div_zero 0
		.amdhsa_exception_fp_ieee_overflow 0
		.amdhsa_exception_fp_ieee_underflow 0
		.amdhsa_exception_fp_ieee_inexact 0
		.amdhsa_exception_int_div_zero 0
	.end_amdhsa_kernel
	.section	.text._Z17warp_store_kernelILj1024ELj4ELj1ELN7rocprim17ROCPRIM_304000_NS17warp_store_methodE2EfEvPT3_S4_,"axG",@progbits,_Z17warp_store_kernelILj1024ELj4ELj1ELN7rocprim17ROCPRIM_304000_NS17warp_store_methodE2EfEvPT3_S4_,comdat
.Lfunc_end9:
	.size	_Z17warp_store_kernelILj1024ELj4ELj1ELN7rocprim17ROCPRIM_304000_NS17warp_store_methodE2EfEvPT3_S4_, .Lfunc_end9-_Z17warp_store_kernelILj1024ELj4ELj1ELN7rocprim17ROCPRIM_304000_NS17warp_store_methodE2EfEvPT3_S4_
                                        ; -- End function
	.section	.AMDGPU.csdata,"",@progbits
; Kernel info:
; codeLenInByte = 48
; NumSgprs: 4
; NumVgprs: 5
; ScratchSize: 0
; MemoryBound: 0
; FloatMode: 240
; IeeeMode: 1
; LDSByteSize: 0 bytes/workgroup (compile time only)
; SGPRBlocks: 0
; VGPRBlocks: 0
; NumSGPRsForWavesPerEU: 4
; NumVGPRsForWavesPerEU: 5
; Occupancy: 16
; WaveLimiterHint : 0
; COMPUTE_PGM_RSRC2:SCRATCH_EN: 0
; COMPUTE_PGM_RSRC2:USER_SGPR: 15
; COMPUTE_PGM_RSRC2:TRAP_HANDLER: 0
; COMPUTE_PGM_RSRC2:TGID_X_EN: 1
; COMPUTE_PGM_RSRC2:TGID_Y_EN: 0
; COMPUTE_PGM_RSRC2:TGID_Z_EN: 0
; COMPUTE_PGM_RSRC2:TIDIG_COMP_CNT: 0
	.section	.text._Z17warp_store_kernelILj1024ELj4ELj1ELN7rocprim17ROCPRIM_304000_NS17warp_store_methodE1EfEvPT3_S4_,"axG",@progbits,_Z17warp_store_kernelILj1024ELj4ELj1ELN7rocprim17ROCPRIM_304000_NS17warp_store_methodE1EfEvPT3_S4_,comdat
	.protected	_Z17warp_store_kernelILj1024ELj4ELj1ELN7rocprim17ROCPRIM_304000_NS17warp_store_methodE1EfEvPT3_S4_ ; -- Begin function _Z17warp_store_kernelILj1024ELj4ELj1ELN7rocprim17ROCPRIM_304000_NS17warp_store_methodE1EfEvPT3_S4_
	.globl	_Z17warp_store_kernelILj1024ELj4ELj1ELN7rocprim17ROCPRIM_304000_NS17warp_store_methodE1EfEvPT3_S4_
	.p2align	8
	.type	_Z17warp_store_kernelILj1024ELj4ELj1ELN7rocprim17ROCPRIM_304000_NS17warp_store_methodE1EfEvPT3_S4_,@function
_Z17warp_store_kernelILj1024ELj4ELj1ELN7rocprim17ROCPRIM_304000_NS17warp_store_methodE1EfEvPT3_S4_: ; @_Z17warp_store_kernelILj1024ELj4ELj1ELN7rocprim17ROCPRIM_304000_NS17warp_store_methodE1EfEvPT3_S4_
; %bb.0:
	s_load_b128 s[0:3], s[0:1], 0x0
	v_lshlrev_b32_e32 v4, 4, v0
	s_waitcnt lgkmcnt(0)
	global_load_b128 v[0:3], v4, s[0:1]
	s_waitcnt vmcnt(0)
	global_store_b128 v4, v[0:3], s[2:3]
	s_nop 0
	s_sendmsg sendmsg(MSG_DEALLOC_VGPRS)
	s_endpgm
	.section	.rodata,"a",@progbits
	.p2align	6, 0x0
	.amdhsa_kernel _Z17warp_store_kernelILj1024ELj4ELj1ELN7rocprim17ROCPRIM_304000_NS17warp_store_methodE1EfEvPT3_S4_
		.amdhsa_group_segment_fixed_size 0
		.amdhsa_private_segment_fixed_size 0
		.amdhsa_kernarg_size 16
		.amdhsa_user_sgpr_count 15
		.amdhsa_user_sgpr_dispatch_ptr 0
		.amdhsa_user_sgpr_queue_ptr 0
		.amdhsa_user_sgpr_kernarg_segment_ptr 1
		.amdhsa_user_sgpr_dispatch_id 0
		.amdhsa_user_sgpr_private_segment_size 0
		.amdhsa_wavefront_size32 1
		.amdhsa_uses_dynamic_stack 0
		.amdhsa_enable_private_segment 0
		.amdhsa_system_sgpr_workgroup_id_x 1
		.amdhsa_system_sgpr_workgroup_id_y 0
		.amdhsa_system_sgpr_workgroup_id_z 0
		.amdhsa_system_sgpr_workgroup_info 0
		.amdhsa_system_vgpr_workitem_id 0
		.amdhsa_next_free_vgpr 5
		.amdhsa_next_free_sgpr 4
		.amdhsa_reserve_vcc 0
		.amdhsa_float_round_mode_32 0
		.amdhsa_float_round_mode_16_64 0
		.amdhsa_float_denorm_mode_32 3
		.amdhsa_float_denorm_mode_16_64 3
		.amdhsa_dx10_clamp 1
		.amdhsa_ieee_mode 1
		.amdhsa_fp16_overflow 0
		.amdhsa_workgroup_processor_mode 1
		.amdhsa_memory_ordered 1
		.amdhsa_forward_progress 0
		.amdhsa_shared_vgpr_count 0
		.amdhsa_exception_fp_ieee_invalid_op 0
		.amdhsa_exception_fp_denorm_src 0
		.amdhsa_exception_fp_ieee_div_zero 0
		.amdhsa_exception_fp_ieee_overflow 0
		.amdhsa_exception_fp_ieee_underflow 0
		.amdhsa_exception_fp_ieee_inexact 0
		.amdhsa_exception_int_div_zero 0
	.end_amdhsa_kernel
	.section	.text._Z17warp_store_kernelILj1024ELj4ELj1ELN7rocprim17ROCPRIM_304000_NS17warp_store_methodE1EfEvPT3_S4_,"axG",@progbits,_Z17warp_store_kernelILj1024ELj4ELj1ELN7rocprim17ROCPRIM_304000_NS17warp_store_methodE1EfEvPT3_S4_,comdat
.Lfunc_end10:
	.size	_Z17warp_store_kernelILj1024ELj4ELj1ELN7rocprim17ROCPRIM_304000_NS17warp_store_methodE1EfEvPT3_S4_, .Lfunc_end10-_Z17warp_store_kernelILj1024ELj4ELj1ELN7rocprim17ROCPRIM_304000_NS17warp_store_methodE1EfEvPT3_S4_
                                        ; -- End function
	.section	.AMDGPU.csdata,"",@progbits
; Kernel info:
; codeLenInByte = 48
; NumSgprs: 4
; NumVgprs: 5
; ScratchSize: 0
; MemoryBound: 0
; FloatMode: 240
; IeeeMode: 1
; LDSByteSize: 0 bytes/workgroup (compile time only)
; SGPRBlocks: 0
; VGPRBlocks: 0
; NumSGPRsForWavesPerEU: 4
; NumVGPRsForWavesPerEU: 5
; Occupancy: 16
; WaveLimiterHint : 0
; COMPUTE_PGM_RSRC2:SCRATCH_EN: 0
; COMPUTE_PGM_RSRC2:USER_SGPR: 15
; COMPUTE_PGM_RSRC2:TRAP_HANDLER: 0
; COMPUTE_PGM_RSRC2:TGID_X_EN: 1
; COMPUTE_PGM_RSRC2:TGID_Y_EN: 0
; COMPUTE_PGM_RSRC2:TGID_Z_EN: 0
; COMPUTE_PGM_RSRC2:TIDIG_COMP_CNT: 0
	.section	.text._Z17warp_store_kernelILj1024ELj4ELj1ELN7rocprim17ROCPRIM_304000_NS17warp_store_methodE0EfEvPT3_S4_,"axG",@progbits,_Z17warp_store_kernelILj1024ELj4ELj1ELN7rocprim17ROCPRIM_304000_NS17warp_store_methodE0EfEvPT3_S4_,comdat
	.protected	_Z17warp_store_kernelILj1024ELj4ELj1ELN7rocprim17ROCPRIM_304000_NS17warp_store_methodE0EfEvPT3_S4_ ; -- Begin function _Z17warp_store_kernelILj1024ELj4ELj1ELN7rocprim17ROCPRIM_304000_NS17warp_store_methodE0EfEvPT3_S4_
	.globl	_Z17warp_store_kernelILj1024ELj4ELj1ELN7rocprim17ROCPRIM_304000_NS17warp_store_methodE0EfEvPT3_S4_
	.p2align	8
	.type	_Z17warp_store_kernelILj1024ELj4ELj1ELN7rocprim17ROCPRIM_304000_NS17warp_store_methodE0EfEvPT3_S4_,@function
_Z17warp_store_kernelILj1024ELj4ELj1ELN7rocprim17ROCPRIM_304000_NS17warp_store_methodE0EfEvPT3_S4_: ; @_Z17warp_store_kernelILj1024ELj4ELj1ELN7rocprim17ROCPRIM_304000_NS17warp_store_methodE0EfEvPT3_S4_
; %bb.0:
	s_load_b128 s[0:3], s[0:1], 0x0
	v_lshlrev_b32_e32 v4, 4, v0
	s_waitcnt lgkmcnt(0)
	global_load_b128 v[0:3], v4, s[0:1]
	s_waitcnt vmcnt(0)
	global_store_b128 v4, v[0:3], s[2:3]
	s_nop 0
	s_sendmsg sendmsg(MSG_DEALLOC_VGPRS)
	s_endpgm
	.section	.rodata,"a",@progbits
	.p2align	6, 0x0
	.amdhsa_kernel _Z17warp_store_kernelILj1024ELj4ELj1ELN7rocprim17ROCPRIM_304000_NS17warp_store_methodE0EfEvPT3_S4_
		.amdhsa_group_segment_fixed_size 0
		.amdhsa_private_segment_fixed_size 0
		.amdhsa_kernarg_size 16
		.amdhsa_user_sgpr_count 15
		.amdhsa_user_sgpr_dispatch_ptr 0
		.amdhsa_user_sgpr_queue_ptr 0
		.amdhsa_user_sgpr_kernarg_segment_ptr 1
		.amdhsa_user_sgpr_dispatch_id 0
		.amdhsa_user_sgpr_private_segment_size 0
		.amdhsa_wavefront_size32 1
		.amdhsa_uses_dynamic_stack 0
		.amdhsa_enable_private_segment 0
		.amdhsa_system_sgpr_workgroup_id_x 1
		.amdhsa_system_sgpr_workgroup_id_y 0
		.amdhsa_system_sgpr_workgroup_id_z 0
		.amdhsa_system_sgpr_workgroup_info 0
		.amdhsa_system_vgpr_workitem_id 0
		.amdhsa_next_free_vgpr 5
		.amdhsa_next_free_sgpr 4
		.amdhsa_reserve_vcc 0
		.amdhsa_float_round_mode_32 0
		.amdhsa_float_round_mode_16_64 0
		.amdhsa_float_denorm_mode_32 3
		.amdhsa_float_denorm_mode_16_64 3
		.amdhsa_dx10_clamp 1
		.amdhsa_ieee_mode 1
		.amdhsa_fp16_overflow 0
		.amdhsa_workgroup_processor_mode 1
		.amdhsa_memory_ordered 1
		.amdhsa_forward_progress 0
		.amdhsa_shared_vgpr_count 0
		.amdhsa_exception_fp_ieee_invalid_op 0
		.amdhsa_exception_fp_denorm_src 0
		.amdhsa_exception_fp_ieee_div_zero 0
		.amdhsa_exception_fp_ieee_overflow 0
		.amdhsa_exception_fp_ieee_underflow 0
		.amdhsa_exception_fp_ieee_inexact 0
		.amdhsa_exception_int_div_zero 0
	.end_amdhsa_kernel
	.section	.text._Z17warp_store_kernelILj1024ELj4ELj1ELN7rocprim17ROCPRIM_304000_NS17warp_store_methodE0EfEvPT3_S4_,"axG",@progbits,_Z17warp_store_kernelILj1024ELj4ELj1ELN7rocprim17ROCPRIM_304000_NS17warp_store_methodE0EfEvPT3_S4_,comdat
.Lfunc_end11:
	.size	_Z17warp_store_kernelILj1024ELj4ELj1ELN7rocprim17ROCPRIM_304000_NS17warp_store_methodE0EfEvPT3_S4_, .Lfunc_end11-_Z17warp_store_kernelILj1024ELj4ELj1ELN7rocprim17ROCPRIM_304000_NS17warp_store_methodE0EfEvPT3_S4_
                                        ; -- End function
	.section	.AMDGPU.csdata,"",@progbits
; Kernel info:
; codeLenInByte = 48
; NumSgprs: 4
; NumVgprs: 5
; ScratchSize: 0
; MemoryBound: 0
; FloatMode: 240
; IeeeMode: 1
; LDSByteSize: 0 bytes/workgroup (compile time only)
; SGPRBlocks: 0
; VGPRBlocks: 0
; NumSGPRsForWavesPerEU: 4
; NumVGPRsForWavesPerEU: 5
; Occupancy: 16
; WaveLimiterHint : 0
; COMPUTE_PGM_RSRC2:SCRATCH_EN: 0
; COMPUTE_PGM_RSRC2:USER_SGPR: 15
; COMPUTE_PGM_RSRC2:TRAP_HANDLER: 0
; COMPUTE_PGM_RSRC2:TGID_X_EN: 1
; COMPUTE_PGM_RSRC2:TGID_Y_EN: 0
; COMPUTE_PGM_RSRC2:TGID_Z_EN: 0
; COMPUTE_PGM_RSRC2:TIDIG_COMP_CNT: 0
	.section	.text._Z17warp_store_kernelILj1024ELj4ELj1ELN7rocprim17ROCPRIM_304000_NS17warp_store_methodE3EhEvPT3_S4_,"axG",@progbits,_Z17warp_store_kernelILj1024ELj4ELj1ELN7rocprim17ROCPRIM_304000_NS17warp_store_methodE3EhEvPT3_S4_,comdat
	.protected	_Z17warp_store_kernelILj1024ELj4ELj1ELN7rocprim17ROCPRIM_304000_NS17warp_store_methodE3EhEvPT3_S4_ ; -- Begin function _Z17warp_store_kernelILj1024ELj4ELj1ELN7rocprim17ROCPRIM_304000_NS17warp_store_methodE3EhEvPT3_S4_
	.globl	_Z17warp_store_kernelILj1024ELj4ELj1ELN7rocprim17ROCPRIM_304000_NS17warp_store_methodE3EhEvPT3_S4_
	.p2align	8
	.type	_Z17warp_store_kernelILj1024ELj4ELj1ELN7rocprim17ROCPRIM_304000_NS17warp_store_methodE3EhEvPT3_S4_,@function
_Z17warp_store_kernelILj1024ELj4ELj1ELN7rocprim17ROCPRIM_304000_NS17warp_store_methodE3EhEvPT3_S4_: ; @_Z17warp_store_kernelILj1024ELj4ELj1ELN7rocprim17ROCPRIM_304000_NS17warp_store_methodE3EhEvPT3_S4_
; %bb.0:
	s_load_b128 s[0:3], s[0:1], 0x0
	v_lshlrev_b32_e32 v0, 2, v0
	s_waitcnt lgkmcnt(0)
	global_load_b32 v1, v0, s[0:1]
	s_waitcnt vmcnt(0)
	ds_store_b32 v0, v1
	; wave barrier
	ds_load_b32 v1, v0
	s_waitcnt lgkmcnt(0)
	global_store_b32 v0, v1, s[2:3]
	s_nop 0
	s_sendmsg sendmsg(MSG_DEALLOC_VGPRS)
	s_endpgm
	.section	.rodata,"a",@progbits
	.p2align	6, 0x0
	.amdhsa_kernel _Z17warp_store_kernelILj1024ELj4ELj1ELN7rocprim17ROCPRIM_304000_NS17warp_store_methodE3EhEvPT3_S4_
		.amdhsa_group_segment_fixed_size 4096
		.amdhsa_private_segment_fixed_size 0
		.amdhsa_kernarg_size 16
		.amdhsa_user_sgpr_count 15
		.amdhsa_user_sgpr_dispatch_ptr 0
		.amdhsa_user_sgpr_queue_ptr 0
		.amdhsa_user_sgpr_kernarg_segment_ptr 1
		.amdhsa_user_sgpr_dispatch_id 0
		.amdhsa_user_sgpr_private_segment_size 0
		.amdhsa_wavefront_size32 1
		.amdhsa_uses_dynamic_stack 0
		.amdhsa_enable_private_segment 0
		.amdhsa_system_sgpr_workgroup_id_x 1
		.amdhsa_system_sgpr_workgroup_id_y 0
		.amdhsa_system_sgpr_workgroup_id_z 0
		.amdhsa_system_sgpr_workgroup_info 0
		.amdhsa_system_vgpr_workitem_id 0
		.amdhsa_next_free_vgpr 2
		.amdhsa_next_free_sgpr 4
		.amdhsa_reserve_vcc 0
		.amdhsa_float_round_mode_32 0
		.amdhsa_float_round_mode_16_64 0
		.amdhsa_float_denorm_mode_32 3
		.amdhsa_float_denorm_mode_16_64 3
		.amdhsa_dx10_clamp 1
		.amdhsa_ieee_mode 1
		.amdhsa_fp16_overflow 0
		.amdhsa_workgroup_processor_mode 1
		.amdhsa_memory_ordered 1
		.amdhsa_forward_progress 0
		.amdhsa_shared_vgpr_count 0
		.amdhsa_exception_fp_ieee_invalid_op 0
		.amdhsa_exception_fp_denorm_src 0
		.amdhsa_exception_fp_ieee_div_zero 0
		.amdhsa_exception_fp_ieee_overflow 0
		.amdhsa_exception_fp_ieee_underflow 0
		.amdhsa_exception_fp_ieee_inexact 0
		.amdhsa_exception_int_div_zero 0
	.end_amdhsa_kernel
	.section	.text._Z17warp_store_kernelILj1024ELj4ELj1ELN7rocprim17ROCPRIM_304000_NS17warp_store_methodE3EhEvPT3_S4_,"axG",@progbits,_Z17warp_store_kernelILj1024ELj4ELj1ELN7rocprim17ROCPRIM_304000_NS17warp_store_methodE3EhEvPT3_S4_,comdat
.Lfunc_end12:
	.size	_Z17warp_store_kernelILj1024ELj4ELj1ELN7rocprim17ROCPRIM_304000_NS17warp_store_methodE3EhEvPT3_S4_, .Lfunc_end12-_Z17warp_store_kernelILj1024ELj4ELj1ELN7rocprim17ROCPRIM_304000_NS17warp_store_methodE3EhEvPT3_S4_
                                        ; -- End function
	.section	.AMDGPU.csdata,"",@progbits
; Kernel info:
; codeLenInByte = 68
; NumSgprs: 4
; NumVgprs: 2
; ScratchSize: 0
; MemoryBound: 0
; FloatMode: 240
; IeeeMode: 1
; LDSByteSize: 4096 bytes/workgroup (compile time only)
; SGPRBlocks: 0
; VGPRBlocks: 0
; NumSGPRsForWavesPerEU: 4
; NumVGPRsForWavesPerEU: 2
; Occupancy: 16
; WaveLimiterHint : 0
; COMPUTE_PGM_RSRC2:SCRATCH_EN: 0
; COMPUTE_PGM_RSRC2:USER_SGPR: 15
; COMPUTE_PGM_RSRC2:TRAP_HANDLER: 0
; COMPUTE_PGM_RSRC2:TGID_X_EN: 1
; COMPUTE_PGM_RSRC2:TGID_Y_EN: 0
; COMPUTE_PGM_RSRC2:TGID_Z_EN: 0
; COMPUTE_PGM_RSRC2:TIDIG_COMP_CNT: 0
	.section	.text._Z17warp_store_kernelILj1024ELj4ELj1ELN7rocprim17ROCPRIM_304000_NS17warp_store_methodE2EhEvPT3_S4_,"axG",@progbits,_Z17warp_store_kernelILj1024ELj4ELj1ELN7rocprim17ROCPRIM_304000_NS17warp_store_methodE2EhEvPT3_S4_,comdat
	.protected	_Z17warp_store_kernelILj1024ELj4ELj1ELN7rocprim17ROCPRIM_304000_NS17warp_store_methodE2EhEvPT3_S4_ ; -- Begin function _Z17warp_store_kernelILj1024ELj4ELj1ELN7rocprim17ROCPRIM_304000_NS17warp_store_methodE2EhEvPT3_S4_
	.globl	_Z17warp_store_kernelILj1024ELj4ELj1ELN7rocprim17ROCPRIM_304000_NS17warp_store_methodE2EhEvPT3_S4_
	.p2align	8
	.type	_Z17warp_store_kernelILj1024ELj4ELj1ELN7rocprim17ROCPRIM_304000_NS17warp_store_methodE2EhEvPT3_S4_,@function
_Z17warp_store_kernelILj1024ELj4ELj1ELN7rocprim17ROCPRIM_304000_NS17warp_store_methodE2EhEvPT3_S4_: ; @_Z17warp_store_kernelILj1024ELj4ELj1ELN7rocprim17ROCPRIM_304000_NS17warp_store_methodE2EhEvPT3_S4_
; %bb.0:
	s_load_b128 s[0:3], s[0:1], 0x0
	v_lshlrev_b32_e32 v0, 2, v0
	s_waitcnt lgkmcnt(0)
	global_load_b32 v1, v0, s[0:1]
	s_waitcnt vmcnt(0)
	global_store_b32 v0, v1, s[2:3]
	s_nop 0
	s_sendmsg sendmsg(MSG_DEALLOC_VGPRS)
	s_endpgm
	.section	.rodata,"a",@progbits
	.p2align	6, 0x0
	.amdhsa_kernel _Z17warp_store_kernelILj1024ELj4ELj1ELN7rocprim17ROCPRIM_304000_NS17warp_store_methodE2EhEvPT3_S4_
		.amdhsa_group_segment_fixed_size 0
		.amdhsa_private_segment_fixed_size 0
		.amdhsa_kernarg_size 16
		.amdhsa_user_sgpr_count 15
		.amdhsa_user_sgpr_dispatch_ptr 0
		.amdhsa_user_sgpr_queue_ptr 0
		.amdhsa_user_sgpr_kernarg_segment_ptr 1
		.amdhsa_user_sgpr_dispatch_id 0
		.amdhsa_user_sgpr_private_segment_size 0
		.amdhsa_wavefront_size32 1
		.amdhsa_uses_dynamic_stack 0
		.amdhsa_enable_private_segment 0
		.amdhsa_system_sgpr_workgroup_id_x 1
		.amdhsa_system_sgpr_workgroup_id_y 0
		.amdhsa_system_sgpr_workgroup_id_z 0
		.amdhsa_system_sgpr_workgroup_info 0
		.amdhsa_system_vgpr_workitem_id 0
		.amdhsa_next_free_vgpr 2
		.amdhsa_next_free_sgpr 4
		.amdhsa_reserve_vcc 0
		.amdhsa_float_round_mode_32 0
		.amdhsa_float_round_mode_16_64 0
		.amdhsa_float_denorm_mode_32 3
		.amdhsa_float_denorm_mode_16_64 3
		.amdhsa_dx10_clamp 1
		.amdhsa_ieee_mode 1
		.amdhsa_fp16_overflow 0
		.amdhsa_workgroup_processor_mode 1
		.amdhsa_memory_ordered 1
		.amdhsa_forward_progress 0
		.amdhsa_shared_vgpr_count 0
		.amdhsa_exception_fp_ieee_invalid_op 0
		.amdhsa_exception_fp_denorm_src 0
		.amdhsa_exception_fp_ieee_div_zero 0
		.amdhsa_exception_fp_ieee_overflow 0
		.amdhsa_exception_fp_ieee_underflow 0
		.amdhsa_exception_fp_ieee_inexact 0
		.amdhsa_exception_int_div_zero 0
	.end_amdhsa_kernel
	.section	.text._Z17warp_store_kernelILj1024ELj4ELj1ELN7rocprim17ROCPRIM_304000_NS17warp_store_methodE2EhEvPT3_S4_,"axG",@progbits,_Z17warp_store_kernelILj1024ELj4ELj1ELN7rocprim17ROCPRIM_304000_NS17warp_store_methodE2EhEvPT3_S4_,comdat
.Lfunc_end13:
	.size	_Z17warp_store_kernelILj1024ELj4ELj1ELN7rocprim17ROCPRIM_304000_NS17warp_store_methodE2EhEvPT3_S4_, .Lfunc_end13-_Z17warp_store_kernelILj1024ELj4ELj1ELN7rocprim17ROCPRIM_304000_NS17warp_store_methodE2EhEvPT3_S4_
                                        ; -- End function
	.section	.AMDGPU.csdata,"",@progbits
; Kernel info:
; codeLenInByte = 48
; NumSgprs: 4
; NumVgprs: 2
; ScratchSize: 0
; MemoryBound: 0
; FloatMode: 240
; IeeeMode: 1
; LDSByteSize: 0 bytes/workgroup (compile time only)
; SGPRBlocks: 0
; VGPRBlocks: 0
; NumSGPRsForWavesPerEU: 4
; NumVGPRsForWavesPerEU: 2
; Occupancy: 16
; WaveLimiterHint : 0
; COMPUTE_PGM_RSRC2:SCRATCH_EN: 0
; COMPUTE_PGM_RSRC2:USER_SGPR: 15
; COMPUTE_PGM_RSRC2:TRAP_HANDLER: 0
; COMPUTE_PGM_RSRC2:TGID_X_EN: 1
; COMPUTE_PGM_RSRC2:TGID_Y_EN: 0
; COMPUTE_PGM_RSRC2:TGID_Z_EN: 0
; COMPUTE_PGM_RSRC2:TIDIG_COMP_CNT: 0
	.section	.text._Z17warp_store_kernelILj1024ELj4ELj1ELN7rocprim17ROCPRIM_304000_NS17warp_store_methodE1EhEvPT3_S4_,"axG",@progbits,_Z17warp_store_kernelILj1024ELj4ELj1ELN7rocprim17ROCPRIM_304000_NS17warp_store_methodE1EhEvPT3_S4_,comdat
	.protected	_Z17warp_store_kernelILj1024ELj4ELj1ELN7rocprim17ROCPRIM_304000_NS17warp_store_methodE1EhEvPT3_S4_ ; -- Begin function _Z17warp_store_kernelILj1024ELj4ELj1ELN7rocprim17ROCPRIM_304000_NS17warp_store_methodE1EhEvPT3_S4_
	.globl	_Z17warp_store_kernelILj1024ELj4ELj1ELN7rocprim17ROCPRIM_304000_NS17warp_store_methodE1EhEvPT3_S4_
	.p2align	8
	.type	_Z17warp_store_kernelILj1024ELj4ELj1ELN7rocprim17ROCPRIM_304000_NS17warp_store_methodE1EhEvPT3_S4_,@function
_Z17warp_store_kernelILj1024ELj4ELj1ELN7rocprim17ROCPRIM_304000_NS17warp_store_methodE1EhEvPT3_S4_: ; @_Z17warp_store_kernelILj1024ELj4ELj1ELN7rocprim17ROCPRIM_304000_NS17warp_store_methodE1EhEvPT3_S4_
; %bb.0:
	s_load_b128 s[0:3], s[0:1], 0x0
	v_lshlrev_b32_e32 v0, 2, v0
	s_waitcnt lgkmcnt(0)
	global_load_b32 v1, v0, s[0:1]
	s_waitcnt vmcnt(0)
	global_store_b32 v0, v1, s[2:3]
	s_nop 0
	s_sendmsg sendmsg(MSG_DEALLOC_VGPRS)
	s_endpgm
	.section	.rodata,"a",@progbits
	.p2align	6, 0x0
	.amdhsa_kernel _Z17warp_store_kernelILj1024ELj4ELj1ELN7rocprim17ROCPRIM_304000_NS17warp_store_methodE1EhEvPT3_S4_
		.amdhsa_group_segment_fixed_size 0
		.amdhsa_private_segment_fixed_size 0
		.amdhsa_kernarg_size 16
		.amdhsa_user_sgpr_count 15
		.amdhsa_user_sgpr_dispatch_ptr 0
		.amdhsa_user_sgpr_queue_ptr 0
		.amdhsa_user_sgpr_kernarg_segment_ptr 1
		.amdhsa_user_sgpr_dispatch_id 0
		.amdhsa_user_sgpr_private_segment_size 0
		.amdhsa_wavefront_size32 1
		.amdhsa_uses_dynamic_stack 0
		.amdhsa_enable_private_segment 0
		.amdhsa_system_sgpr_workgroup_id_x 1
		.amdhsa_system_sgpr_workgroup_id_y 0
		.amdhsa_system_sgpr_workgroup_id_z 0
		.amdhsa_system_sgpr_workgroup_info 0
		.amdhsa_system_vgpr_workitem_id 0
		.amdhsa_next_free_vgpr 2
		.amdhsa_next_free_sgpr 4
		.amdhsa_reserve_vcc 0
		.amdhsa_float_round_mode_32 0
		.amdhsa_float_round_mode_16_64 0
		.amdhsa_float_denorm_mode_32 3
		.amdhsa_float_denorm_mode_16_64 3
		.amdhsa_dx10_clamp 1
		.amdhsa_ieee_mode 1
		.amdhsa_fp16_overflow 0
		.amdhsa_workgroup_processor_mode 1
		.amdhsa_memory_ordered 1
		.amdhsa_forward_progress 0
		.amdhsa_shared_vgpr_count 0
		.amdhsa_exception_fp_ieee_invalid_op 0
		.amdhsa_exception_fp_denorm_src 0
		.amdhsa_exception_fp_ieee_div_zero 0
		.amdhsa_exception_fp_ieee_overflow 0
		.amdhsa_exception_fp_ieee_underflow 0
		.amdhsa_exception_fp_ieee_inexact 0
		.amdhsa_exception_int_div_zero 0
	.end_amdhsa_kernel
	.section	.text._Z17warp_store_kernelILj1024ELj4ELj1ELN7rocprim17ROCPRIM_304000_NS17warp_store_methodE1EhEvPT3_S4_,"axG",@progbits,_Z17warp_store_kernelILj1024ELj4ELj1ELN7rocprim17ROCPRIM_304000_NS17warp_store_methodE1EhEvPT3_S4_,comdat
.Lfunc_end14:
	.size	_Z17warp_store_kernelILj1024ELj4ELj1ELN7rocprim17ROCPRIM_304000_NS17warp_store_methodE1EhEvPT3_S4_, .Lfunc_end14-_Z17warp_store_kernelILj1024ELj4ELj1ELN7rocprim17ROCPRIM_304000_NS17warp_store_methodE1EhEvPT3_S4_
                                        ; -- End function
	.section	.AMDGPU.csdata,"",@progbits
; Kernel info:
; codeLenInByte = 48
; NumSgprs: 4
; NumVgprs: 2
; ScratchSize: 0
; MemoryBound: 0
; FloatMode: 240
; IeeeMode: 1
; LDSByteSize: 0 bytes/workgroup (compile time only)
; SGPRBlocks: 0
; VGPRBlocks: 0
; NumSGPRsForWavesPerEU: 4
; NumVGPRsForWavesPerEU: 2
; Occupancy: 16
; WaveLimiterHint : 0
; COMPUTE_PGM_RSRC2:SCRATCH_EN: 0
; COMPUTE_PGM_RSRC2:USER_SGPR: 15
; COMPUTE_PGM_RSRC2:TRAP_HANDLER: 0
; COMPUTE_PGM_RSRC2:TGID_X_EN: 1
; COMPUTE_PGM_RSRC2:TGID_Y_EN: 0
; COMPUTE_PGM_RSRC2:TGID_Z_EN: 0
; COMPUTE_PGM_RSRC2:TIDIG_COMP_CNT: 0
	.section	.text._Z17warp_store_kernelILj1024ELj4ELj1ELN7rocprim17ROCPRIM_304000_NS17warp_store_methodE0EhEvPT3_S4_,"axG",@progbits,_Z17warp_store_kernelILj1024ELj4ELj1ELN7rocprim17ROCPRIM_304000_NS17warp_store_methodE0EhEvPT3_S4_,comdat
	.protected	_Z17warp_store_kernelILj1024ELj4ELj1ELN7rocprim17ROCPRIM_304000_NS17warp_store_methodE0EhEvPT3_S4_ ; -- Begin function _Z17warp_store_kernelILj1024ELj4ELj1ELN7rocprim17ROCPRIM_304000_NS17warp_store_methodE0EhEvPT3_S4_
	.globl	_Z17warp_store_kernelILj1024ELj4ELj1ELN7rocprim17ROCPRIM_304000_NS17warp_store_methodE0EhEvPT3_S4_
	.p2align	8
	.type	_Z17warp_store_kernelILj1024ELj4ELj1ELN7rocprim17ROCPRIM_304000_NS17warp_store_methodE0EhEvPT3_S4_,@function
_Z17warp_store_kernelILj1024ELj4ELj1ELN7rocprim17ROCPRIM_304000_NS17warp_store_methodE0EhEvPT3_S4_: ; @_Z17warp_store_kernelILj1024ELj4ELj1ELN7rocprim17ROCPRIM_304000_NS17warp_store_methodE0EhEvPT3_S4_
; %bb.0:
	s_load_b128 s[0:3], s[0:1], 0x0
	v_lshlrev_b32_e32 v0, 2, v0
	s_waitcnt lgkmcnt(0)
	global_load_b32 v1, v0, s[0:1]
	s_waitcnt vmcnt(0)
	global_store_b32 v0, v1, s[2:3]
	s_nop 0
	s_sendmsg sendmsg(MSG_DEALLOC_VGPRS)
	s_endpgm
	.section	.rodata,"a",@progbits
	.p2align	6, 0x0
	.amdhsa_kernel _Z17warp_store_kernelILj1024ELj4ELj1ELN7rocprim17ROCPRIM_304000_NS17warp_store_methodE0EhEvPT3_S4_
		.amdhsa_group_segment_fixed_size 0
		.amdhsa_private_segment_fixed_size 0
		.amdhsa_kernarg_size 16
		.amdhsa_user_sgpr_count 15
		.amdhsa_user_sgpr_dispatch_ptr 0
		.amdhsa_user_sgpr_queue_ptr 0
		.amdhsa_user_sgpr_kernarg_segment_ptr 1
		.amdhsa_user_sgpr_dispatch_id 0
		.amdhsa_user_sgpr_private_segment_size 0
		.amdhsa_wavefront_size32 1
		.amdhsa_uses_dynamic_stack 0
		.amdhsa_enable_private_segment 0
		.amdhsa_system_sgpr_workgroup_id_x 1
		.amdhsa_system_sgpr_workgroup_id_y 0
		.amdhsa_system_sgpr_workgroup_id_z 0
		.amdhsa_system_sgpr_workgroup_info 0
		.amdhsa_system_vgpr_workitem_id 0
		.amdhsa_next_free_vgpr 2
		.amdhsa_next_free_sgpr 4
		.amdhsa_reserve_vcc 0
		.amdhsa_float_round_mode_32 0
		.amdhsa_float_round_mode_16_64 0
		.amdhsa_float_denorm_mode_32 3
		.amdhsa_float_denorm_mode_16_64 3
		.amdhsa_dx10_clamp 1
		.amdhsa_ieee_mode 1
		.amdhsa_fp16_overflow 0
		.amdhsa_workgroup_processor_mode 1
		.amdhsa_memory_ordered 1
		.amdhsa_forward_progress 0
		.amdhsa_shared_vgpr_count 0
		.amdhsa_exception_fp_ieee_invalid_op 0
		.amdhsa_exception_fp_denorm_src 0
		.amdhsa_exception_fp_ieee_div_zero 0
		.amdhsa_exception_fp_ieee_overflow 0
		.amdhsa_exception_fp_ieee_underflow 0
		.amdhsa_exception_fp_ieee_inexact 0
		.amdhsa_exception_int_div_zero 0
	.end_amdhsa_kernel
	.section	.text._Z17warp_store_kernelILj1024ELj4ELj1ELN7rocprim17ROCPRIM_304000_NS17warp_store_methodE0EhEvPT3_S4_,"axG",@progbits,_Z17warp_store_kernelILj1024ELj4ELj1ELN7rocprim17ROCPRIM_304000_NS17warp_store_methodE0EhEvPT3_S4_,comdat
.Lfunc_end15:
	.size	_Z17warp_store_kernelILj1024ELj4ELj1ELN7rocprim17ROCPRIM_304000_NS17warp_store_methodE0EhEvPT3_S4_, .Lfunc_end15-_Z17warp_store_kernelILj1024ELj4ELj1ELN7rocprim17ROCPRIM_304000_NS17warp_store_methodE0EhEvPT3_S4_
                                        ; -- End function
	.section	.AMDGPU.csdata,"",@progbits
; Kernel info:
; codeLenInByte = 48
; NumSgprs: 4
; NumVgprs: 2
; ScratchSize: 0
; MemoryBound: 0
; FloatMode: 240
; IeeeMode: 1
; LDSByteSize: 0 bytes/workgroup (compile time only)
; SGPRBlocks: 0
; VGPRBlocks: 0
; NumSGPRsForWavesPerEU: 4
; NumVGPRsForWavesPerEU: 2
; Occupancy: 16
; WaveLimiterHint : 0
; COMPUTE_PGM_RSRC2:SCRATCH_EN: 0
; COMPUTE_PGM_RSRC2:USER_SGPR: 15
; COMPUTE_PGM_RSRC2:TRAP_HANDLER: 0
; COMPUTE_PGM_RSRC2:TGID_X_EN: 1
; COMPUTE_PGM_RSRC2:TGID_Y_EN: 0
; COMPUTE_PGM_RSRC2:TGID_Z_EN: 0
; COMPUTE_PGM_RSRC2:TIDIG_COMP_CNT: 0
	.section	.text._Z17warp_store_kernelILj1024ELj4ELj1ELN7rocprim17ROCPRIM_304000_NS17warp_store_methodE3EaEvPT3_S4_,"axG",@progbits,_Z17warp_store_kernelILj1024ELj4ELj1ELN7rocprim17ROCPRIM_304000_NS17warp_store_methodE3EaEvPT3_S4_,comdat
	.protected	_Z17warp_store_kernelILj1024ELj4ELj1ELN7rocprim17ROCPRIM_304000_NS17warp_store_methodE3EaEvPT3_S4_ ; -- Begin function _Z17warp_store_kernelILj1024ELj4ELj1ELN7rocprim17ROCPRIM_304000_NS17warp_store_methodE3EaEvPT3_S4_
	.globl	_Z17warp_store_kernelILj1024ELj4ELj1ELN7rocprim17ROCPRIM_304000_NS17warp_store_methodE3EaEvPT3_S4_
	.p2align	8
	.type	_Z17warp_store_kernelILj1024ELj4ELj1ELN7rocprim17ROCPRIM_304000_NS17warp_store_methodE3EaEvPT3_S4_,@function
_Z17warp_store_kernelILj1024ELj4ELj1ELN7rocprim17ROCPRIM_304000_NS17warp_store_methodE3EaEvPT3_S4_: ; @_Z17warp_store_kernelILj1024ELj4ELj1ELN7rocprim17ROCPRIM_304000_NS17warp_store_methodE3EaEvPT3_S4_
; %bb.0:
	s_load_b128 s[0:3], s[0:1], 0x0
	v_lshlrev_b32_e32 v0, 2, v0
	s_waitcnt lgkmcnt(0)
	global_load_b32 v1, v0, s[0:1]
	s_waitcnt vmcnt(0)
	ds_store_b32 v0, v1
	; wave barrier
	ds_load_b32 v1, v0
	s_waitcnt lgkmcnt(0)
	global_store_b32 v0, v1, s[2:3]
	s_nop 0
	s_sendmsg sendmsg(MSG_DEALLOC_VGPRS)
	s_endpgm
	.section	.rodata,"a",@progbits
	.p2align	6, 0x0
	.amdhsa_kernel _Z17warp_store_kernelILj1024ELj4ELj1ELN7rocprim17ROCPRIM_304000_NS17warp_store_methodE3EaEvPT3_S4_
		.amdhsa_group_segment_fixed_size 4096
		.amdhsa_private_segment_fixed_size 0
		.amdhsa_kernarg_size 16
		.amdhsa_user_sgpr_count 15
		.amdhsa_user_sgpr_dispatch_ptr 0
		.amdhsa_user_sgpr_queue_ptr 0
		.amdhsa_user_sgpr_kernarg_segment_ptr 1
		.amdhsa_user_sgpr_dispatch_id 0
		.amdhsa_user_sgpr_private_segment_size 0
		.amdhsa_wavefront_size32 1
		.amdhsa_uses_dynamic_stack 0
		.amdhsa_enable_private_segment 0
		.amdhsa_system_sgpr_workgroup_id_x 1
		.amdhsa_system_sgpr_workgroup_id_y 0
		.amdhsa_system_sgpr_workgroup_id_z 0
		.amdhsa_system_sgpr_workgroup_info 0
		.amdhsa_system_vgpr_workitem_id 0
		.amdhsa_next_free_vgpr 2
		.amdhsa_next_free_sgpr 4
		.amdhsa_reserve_vcc 0
		.amdhsa_float_round_mode_32 0
		.amdhsa_float_round_mode_16_64 0
		.amdhsa_float_denorm_mode_32 3
		.amdhsa_float_denorm_mode_16_64 3
		.amdhsa_dx10_clamp 1
		.amdhsa_ieee_mode 1
		.amdhsa_fp16_overflow 0
		.amdhsa_workgroup_processor_mode 1
		.amdhsa_memory_ordered 1
		.amdhsa_forward_progress 0
		.amdhsa_shared_vgpr_count 0
		.amdhsa_exception_fp_ieee_invalid_op 0
		.amdhsa_exception_fp_denorm_src 0
		.amdhsa_exception_fp_ieee_div_zero 0
		.amdhsa_exception_fp_ieee_overflow 0
		.amdhsa_exception_fp_ieee_underflow 0
		.amdhsa_exception_fp_ieee_inexact 0
		.amdhsa_exception_int_div_zero 0
	.end_amdhsa_kernel
	.section	.text._Z17warp_store_kernelILj1024ELj4ELj1ELN7rocprim17ROCPRIM_304000_NS17warp_store_methodE3EaEvPT3_S4_,"axG",@progbits,_Z17warp_store_kernelILj1024ELj4ELj1ELN7rocprim17ROCPRIM_304000_NS17warp_store_methodE3EaEvPT3_S4_,comdat
.Lfunc_end16:
	.size	_Z17warp_store_kernelILj1024ELj4ELj1ELN7rocprim17ROCPRIM_304000_NS17warp_store_methodE3EaEvPT3_S4_, .Lfunc_end16-_Z17warp_store_kernelILj1024ELj4ELj1ELN7rocprim17ROCPRIM_304000_NS17warp_store_methodE3EaEvPT3_S4_
                                        ; -- End function
	.section	.AMDGPU.csdata,"",@progbits
; Kernel info:
; codeLenInByte = 68
; NumSgprs: 4
; NumVgprs: 2
; ScratchSize: 0
; MemoryBound: 0
; FloatMode: 240
; IeeeMode: 1
; LDSByteSize: 4096 bytes/workgroup (compile time only)
; SGPRBlocks: 0
; VGPRBlocks: 0
; NumSGPRsForWavesPerEU: 4
; NumVGPRsForWavesPerEU: 2
; Occupancy: 16
; WaveLimiterHint : 0
; COMPUTE_PGM_RSRC2:SCRATCH_EN: 0
; COMPUTE_PGM_RSRC2:USER_SGPR: 15
; COMPUTE_PGM_RSRC2:TRAP_HANDLER: 0
; COMPUTE_PGM_RSRC2:TGID_X_EN: 1
; COMPUTE_PGM_RSRC2:TGID_Y_EN: 0
; COMPUTE_PGM_RSRC2:TGID_Z_EN: 0
; COMPUTE_PGM_RSRC2:TIDIG_COMP_CNT: 0
	.section	.text._Z17warp_store_kernelILj1024ELj4ELj1ELN7rocprim17ROCPRIM_304000_NS17warp_store_methodE2EaEvPT3_S4_,"axG",@progbits,_Z17warp_store_kernelILj1024ELj4ELj1ELN7rocprim17ROCPRIM_304000_NS17warp_store_methodE2EaEvPT3_S4_,comdat
	.protected	_Z17warp_store_kernelILj1024ELj4ELj1ELN7rocprim17ROCPRIM_304000_NS17warp_store_methodE2EaEvPT3_S4_ ; -- Begin function _Z17warp_store_kernelILj1024ELj4ELj1ELN7rocprim17ROCPRIM_304000_NS17warp_store_methodE2EaEvPT3_S4_
	.globl	_Z17warp_store_kernelILj1024ELj4ELj1ELN7rocprim17ROCPRIM_304000_NS17warp_store_methodE2EaEvPT3_S4_
	.p2align	8
	.type	_Z17warp_store_kernelILj1024ELj4ELj1ELN7rocprim17ROCPRIM_304000_NS17warp_store_methodE2EaEvPT3_S4_,@function
_Z17warp_store_kernelILj1024ELj4ELj1ELN7rocprim17ROCPRIM_304000_NS17warp_store_methodE2EaEvPT3_S4_: ; @_Z17warp_store_kernelILj1024ELj4ELj1ELN7rocprim17ROCPRIM_304000_NS17warp_store_methodE2EaEvPT3_S4_
; %bb.0:
	s_load_b128 s[0:3], s[0:1], 0x0
	v_lshlrev_b32_e32 v0, 2, v0
	s_waitcnt lgkmcnt(0)
	global_load_b32 v1, v0, s[0:1]
	s_waitcnt vmcnt(0)
	global_store_b32 v0, v1, s[2:3]
	s_nop 0
	s_sendmsg sendmsg(MSG_DEALLOC_VGPRS)
	s_endpgm
	.section	.rodata,"a",@progbits
	.p2align	6, 0x0
	.amdhsa_kernel _Z17warp_store_kernelILj1024ELj4ELj1ELN7rocprim17ROCPRIM_304000_NS17warp_store_methodE2EaEvPT3_S4_
		.amdhsa_group_segment_fixed_size 0
		.amdhsa_private_segment_fixed_size 0
		.amdhsa_kernarg_size 16
		.amdhsa_user_sgpr_count 15
		.amdhsa_user_sgpr_dispatch_ptr 0
		.amdhsa_user_sgpr_queue_ptr 0
		.amdhsa_user_sgpr_kernarg_segment_ptr 1
		.amdhsa_user_sgpr_dispatch_id 0
		.amdhsa_user_sgpr_private_segment_size 0
		.amdhsa_wavefront_size32 1
		.amdhsa_uses_dynamic_stack 0
		.amdhsa_enable_private_segment 0
		.amdhsa_system_sgpr_workgroup_id_x 1
		.amdhsa_system_sgpr_workgroup_id_y 0
		.amdhsa_system_sgpr_workgroup_id_z 0
		.amdhsa_system_sgpr_workgroup_info 0
		.amdhsa_system_vgpr_workitem_id 0
		.amdhsa_next_free_vgpr 2
		.amdhsa_next_free_sgpr 4
		.amdhsa_reserve_vcc 0
		.amdhsa_float_round_mode_32 0
		.amdhsa_float_round_mode_16_64 0
		.amdhsa_float_denorm_mode_32 3
		.amdhsa_float_denorm_mode_16_64 3
		.amdhsa_dx10_clamp 1
		.amdhsa_ieee_mode 1
		.amdhsa_fp16_overflow 0
		.amdhsa_workgroup_processor_mode 1
		.amdhsa_memory_ordered 1
		.amdhsa_forward_progress 0
		.amdhsa_shared_vgpr_count 0
		.amdhsa_exception_fp_ieee_invalid_op 0
		.amdhsa_exception_fp_denorm_src 0
		.amdhsa_exception_fp_ieee_div_zero 0
		.amdhsa_exception_fp_ieee_overflow 0
		.amdhsa_exception_fp_ieee_underflow 0
		.amdhsa_exception_fp_ieee_inexact 0
		.amdhsa_exception_int_div_zero 0
	.end_amdhsa_kernel
	.section	.text._Z17warp_store_kernelILj1024ELj4ELj1ELN7rocprim17ROCPRIM_304000_NS17warp_store_methodE2EaEvPT3_S4_,"axG",@progbits,_Z17warp_store_kernelILj1024ELj4ELj1ELN7rocprim17ROCPRIM_304000_NS17warp_store_methodE2EaEvPT3_S4_,comdat
.Lfunc_end17:
	.size	_Z17warp_store_kernelILj1024ELj4ELj1ELN7rocprim17ROCPRIM_304000_NS17warp_store_methodE2EaEvPT3_S4_, .Lfunc_end17-_Z17warp_store_kernelILj1024ELj4ELj1ELN7rocprim17ROCPRIM_304000_NS17warp_store_methodE2EaEvPT3_S4_
                                        ; -- End function
	.section	.AMDGPU.csdata,"",@progbits
; Kernel info:
; codeLenInByte = 48
; NumSgprs: 4
; NumVgprs: 2
; ScratchSize: 0
; MemoryBound: 0
; FloatMode: 240
; IeeeMode: 1
; LDSByteSize: 0 bytes/workgroup (compile time only)
; SGPRBlocks: 0
; VGPRBlocks: 0
; NumSGPRsForWavesPerEU: 4
; NumVGPRsForWavesPerEU: 2
; Occupancy: 16
; WaveLimiterHint : 0
; COMPUTE_PGM_RSRC2:SCRATCH_EN: 0
; COMPUTE_PGM_RSRC2:USER_SGPR: 15
; COMPUTE_PGM_RSRC2:TRAP_HANDLER: 0
; COMPUTE_PGM_RSRC2:TGID_X_EN: 1
; COMPUTE_PGM_RSRC2:TGID_Y_EN: 0
; COMPUTE_PGM_RSRC2:TGID_Z_EN: 0
; COMPUTE_PGM_RSRC2:TIDIG_COMP_CNT: 0
	.section	.text._Z17warp_store_kernelILj1024ELj4ELj1ELN7rocprim17ROCPRIM_304000_NS17warp_store_methodE1EaEvPT3_S4_,"axG",@progbits,_Z17warp_store_kernelILj1024ELj4ELj1ELN7rocprim17ROCPRIM_304000_NS17warp_store_methodE1EaEvPT3_S4_,comdat
	.protected	_Z17warp_store_kernelILj1024ELj4ELj1ELN7rocprim17ROCPRIM_304000_NS17warp_store_methodE1EaEvPT3_S4_ ; -- Begin function _Z17warp_store_kernelILj1024ELj4ELj1ELN7rocprim17ROCPRIM_304000_NS17warp_store_methodE1EaEvPT3_S4_
	.globl	_Z17warp_store_kernelILj1024ELj4ELj1ELN7rocprim17ROCPRIM_304000_NS17warp_store_methodE1EaEvPT3_S4_
	.p2align	8
	.type	_Z17warp_store_kernelILj1024ELj4ELj1ELN7rocprim17ROCPRIM_304000_NS17warp_store_methodE1EaEvPT3_S4_,@function
_Z17warp_store_kernelILj1024ELj4ELj1ELN7rocprim17ROCPRIM_304000_NS17warp_store_methodE1EaEvPT3_S4_: ; @_Z17warp_store_kernelILj1024ELj4ELj1ELN7rocprim17ROCPRIM_304000_NS17warp_store_methodE1EaEvPT3_S4_
; %bb.0:
	s_load_b128 s[0:3], s[0:1], 0x0
	v_lshlrev_b32_e32 v0, 2, v0
	s_waitcnt lgkmcnt(0)
	global_load_b32 v1, v0, s[0:1]
	s_waitcnt vmcnt(0)
	global_store_b32 v0, v1, s[2:3]
	s_nop 0
	s_sendmsg sendmsg(MSG_DEALLOC_VGPRS)
	s_endpgm
	.section	.rodata,"a",@progbits
	.p2align	6, 0x0
	.amdhsa_kernel _Z17warp_store_kernelILj1024ELj4ELj1ELN7rocprim17ROCPRIM_304000_NS17warp_store_methodE1EaEvPT3_S4_
		.amdhsa_group_segment_fixed_size 0
		.amdhsa_private_segment_fixed_size 0
		.amdhsa_kernarg_size 16
		.amdhsa_user_sgpr_count 15
		.amdhsa_user_sgpr_dispatch_ptr 0
		.amdhsa_user_sgpr_queue_ptr 0
		.amdhsa_user_sgpr_kernarg_segment_ptr 1
		.amdhsa_user_sgpr_dispatch_id 0
		.amdhsa_user_sgpr_private_segment_size 0
		.amdhsa_wavefront_size32 1
		.amdhsa_uses_dynamic_stack 0
		.amdhsa_enable_private_segment 0
		.amdhsa_system_sgpr_workgroup_id_x 1
		.amdhsa_system_sgpr_workgroup_id_y 0
		.amdhsa_system_sgpr_workgroup_id_z 0
		.amdhsa_system_sgpr_workgroup_info 0
		.amdhsa_system_vgpr_workitem_id 0
		.amdhsa_next_free_vgpr 2
		.amdhsa_next_free_sgpr 4
		.amdhsa_reserve_vcc 0
		.amdhsa_float_round_mode_32 0
		.amdhsa_float_round_mode_16_64 0
		.amdhsa_float_denorm_mode_32 3
		.amdhsa_float_denorm_mode_16_64 3
		.amdhsa_dx10_clamp 1
		.amdhsa_ieee_mode 1
		.amdhsa_fp16_overflow 0
		.amdhsa_workgroup_processor_mode 1
		.amdhsa_memory_ordered 1
		.amdhsa_forward_progress 0
		.amdhsa_shared_vgpr_count 0
		.amdhsa_exception_fp_ieee_invalid_op 0
		.amdhsa_exception_fp_denorm_src 0
		.amdhsa_exception_fp_ieee_div_zero 0
		.amdhsa_exception_fp_ieee_overflow 0
		.amdhsa_exception_fp_ieee_underflow 0
		.amdhsa_exception_fp_ieee_inexact 0
		.amdhsa_exception_int_div_zero 0
	.end_amdhsa_kernel
	.section	.text._Z17warp_store_kernelILj1024ELj4ELj1ELN7rocprim17ROCPRIM_304000_NS17warp_store_methodE1EaEvPT3_S4_,"axG",@progbits,_Z17warp_store_kernelILj1024ELj4ELj1ELN7rocprim17ROCPRIM_304000_NS17warp_store_methodE1EaEvPT3_S4_,comdat
.Lfunc_end18:
	.size	_Z17warp_store_kernelILj1024ELj4ELj1ELN7rocprim17ROCPRIM_304000_NS17warp_store_methodE1EaEvPT3_S4_, .Lfunc_end18-_Z17warp_store_kernelILj1024ELj4ELj1ELN7rocprim17ROCPRIM_304000_NS17warp_store_methodE1EaEvPT3_S4_
                                        ; -- End function
	.section	.AMDGPU.csdata,"",@progbits
; Kernel info:
; codeLenInByte = 48
; NumSgprs: 4
; NumVgprs: 2
; ScratchSize: 0
; MemoryBound: 0
; FloatMode: 240
; IeeeMode: 1
; LDSByteSize: 0 bytes/workgroup (compile time only)
; SGPRBlocks: 0
; VGPRBlocks: 0
; NumSGPRsForWavesPerEU: 4
; NumVGPRsForWavesPerEU: 2
; Occupancy: 16
; WaveLimiterHint : 0
; COMPUTE_PGM_RSRC2:SCRATCH_EN: 0
; COMPUTE_PGM_RSRC2:USER_SGPR: 15
; COMPUTE_PGM_RSRC2:TRAP_HANDLER: 0
; COMPUTE_PGM_RSRC2:TGID_X_EN: 1
; COMPUTE_PGM_RSRC2:TGID_Y_EN: 0
; COMPUTE_PGM_RSRC2:TGID_Z_EN: 0
; COMPUTE_PGM_RSRC2:TIDIG_COMP_CNT: 0
	.section	.text._Z17warp_store_kernelILj1024ELj4ELj1ELN7rocprim17ROCPRIM_304000_NS17warp_store_methodE0EaEvPT3_S4_,"axG",@progbits,_Z17warp_store_kernelILj1024ELj4ELj1ELN7rocprim17ROCPRIM_304000_NS17warp_store_methodE0EaEvPT3_S4_,comdat
	.protected	_Z17warp_store_kernelILj1024ELj4ELj1ELN7rocprim17ROCPRIM_304000_NS17warp_store_methodE0EaEvPT3_S4_ ; -- Begin function _Z17warp_store_kernelILj1024ELj4ELj1ELN7rocprim17ROCPRIM_304000_NS17warp_store_methodE0EaEvPT3_S4_
	.globl	_Z17warp_store_kernelILj1024ELj4ELj1ELN7rocprim17ROCPRIM_304000_NS17warp_store_methodE0EaEvPT3_S4_
	.p2align	8
	.type	_Z17warp_store_kernelILj1024ELj4ELj1ELN7rocprim17ROCPRIM_304000_NS17warp_store_methodE0EaEvPT3_S4_,@function
_Z17warp_store_kernelILj1024ELj4ELj1ELN7rocprim17ROCPRIM_304000_NS17warp_store_methodE0EaEvPT3_S4_: ; @_Z17warp_store_kernelILj1024ELj4ELj1ELN7rocprim17ROCPRIM_304000_NS17warp_store_methodE0EaEvPT3_S4_
; %bb.0:
	s_load_b128 s[0:3], s[0:1], 0x0
	v_lshlrev_b32_e32 v0, 2, v0
	s_waitcnt lgkmcnt(0)
	global_load_b32 v1, v0, s[0:1]
	s_waitcnt vmcnt(0)
	global_store_b32 v0, v1, s[2:3]
	s_nop 0
	s_sendmsg sendmsg(MSG_DEALLOC_VGPRS)
	s_endpgm
	.section	.rodata,"a",@progbits
	.p2align	6, 0x0
	.amdhsa_kernel _Z17warp_store_kernelILj1024ELj4ELj1ELN7rocprim17ROCPRIM_304000_NS17warp_store_methodE0EaEvPT3_S4_
		.amdhsa_group_segment_fixed_size 0
		.amdhsa_private_segment_fixed_size 0
		.amdhsa_kernarg_size 16
		.amdhsa_user_sgpr_count 15
		.amdhsa_user_sgpr_dispatch_ptr 0
		.amdhsa_user_sgpr_queue_ptr 0
		.amdhsa_user_sgpr_kernarg_segment_ptr 1
		.amdhsa_user_sgpr_dispatch_id 0
		.amdhsa_user_sgpr_private_segment_size 0
		.amdhsa_wavefront_size32 1
		.amdhsa_uses_dynamic_stack 0
		.amdhsa_enable_private_segment 0
		.amdhsa_system_sgpr_workgroup_id_x 1
		.amdhsa_system_sgpr_workgroup_id_y 0
		.amdhsa_system_sgpr_workgroup_id_z 0
		.amdhsa_system_sgpr_workgroup_info 0
		.amdhsa_system_vgpr_workitem_id 0
		.amdhsa_next_free_vgpr 2
		.amdhsa_next_free_sgpr 4
		.amdhsa_reserve_vcc 0
		.amdhsa_float_round_mode_32 0
		.amdhsa_float_round_mode_16_64 0
		.amdhsa_float_denorm_mode_32 3
		.amdhsa_float_denorm_mode_16_64 3
		.amdhsa_dx10_clamp 1
		.amdhsa_ieee_mode 1
		.amdhsa_fp16_overflow 0
		.amdhsa_workgroup_processor_mode 1
		.amdhsa_memory_ordered 1
		.amdhsa_forward_progress 0
		.amdhsa_shared_vgpr_count 0
		.amdhsa_exception_fp_ieee_invalid_op 0
		.amdhsa_exception_fp_denorm_src 0
		.amdhsa_exception_fp_ieee_div_zero 0
		.amdhsa_exception_fp_ieee_overflow 0
		.amdhsa_exception_fp_ieee_underflow 0
		.amdhsa_exception_fp_ieee_inexact 0
		.amdhsa_exception_int_div_zero 0
	.end_amdhsa_kernel
	.section	.text._Z17warp_store_kernelILj1024ELj4ELj1ELN7rocprim17ROCPRIM_304000_NS17warp_store_methodE0EaEvPT3_S4_,"axG",@progbits,_Z17warp_store_kernelILj1024ELj4ELj1ELN7rocprim17ROCPRIM_304000_NS17warp_store_methodE0EaEvPT3_S4_,comdat
.Lfunc_end19:
	.size	_Z17warp_store_kernelILj1024ELj4ELj1ELN7rocprim17ROCPRIM_304000_NS17warp_store_methodE0EaEvPT3_S4_, .Lfunc_end19-_Z17warp_store_kernelILj1024ELj4ELj1ELN7rocprim17ROCPRIM_304000_NS17warp_store_methodE0EaEvPT3_S4_
                                        ; -- End function
	.section	.AMDGPU.csdata,"",@progbits
; Kernel info:
; codeLenInByte = 48
; NumSgprs: 4
; NumVgprs: 2
; ScratchSize: 0
; MemoryBound: 0
; FloatMode: 240
; IeeeMode: 1
; LDSByteSize: 0 bytes/workgroup (compile time only)
; SGPRBlocks: 0
; VGPRBlocks: 0
; NumSGPRsForWavesPerEU: 4
; NumVGPRsForWavesPerEU: 2
; Occupancy: 16
; WaveLimiterHint : 0
; COMPUTE_PGM_RSRC2:SCRATCH_EN: 0
; COMPUTE_PGM_RSRC2:USER_SGPR: 15
; COMPUTE_PGM_RSRC2:TRAP_HANDLER: 0
; COMPUTE_PGM_RSRC2:TGID_X_EN: 1
; COMPUTE_PGM_RSRC2:TGID_Y_EN: 0
; COMPUTE_PGM_RSRC2:TGID_Z_EN: 0
; COMPUTE_PGM_RSRC2:TIDIG_COMP_CNT: 0
	.section	.text._Z17warp_store_kernelILj1024ELj4ELj32ELN7rocprim17ROCPRIM_304000_NS17warp_store_methodE3E15HIP_vector_typeIfLj2EEEvPT3_S6_,"axG",@progbits,_Z17warp_store_kernelILj1024ELj4ELj32ELN7rocprim17ROCPRIM_304000_NS17warp_store_methodE3E15HIP_vector_typeIfLj2EEEvPT3_S6_,comdat
	.protected	_Z17warp_store_kernelILj1024ELj4ELj32ELN7rocprim17ROCPRIM_304000_NS17warp_store_methodE3E15HIP_vector_typeIfLj2EEEvPT3_S6_ ; -- Begin function _Z17warp_store_kernelILj1024ELj4ELj32ELN7rocprim17ROCPRIM_304000_NS17warp_store_methodE3E15HIP_vector_typeIfLj2EEEvPT3_S6_
	.globl	_Z17warp_store_kernelILj1024ELj4ELj32ELN7rocprim17ROCPRIM_304000_NS17warp_store_methodE3E15HIP_vector_typeIfLj2EEEvPT3_S6_
	.p2align	8
	.type	_Z17warp_store_kernelILj1024ELj4ELj32ELN7rocprim17ROCPRIM_304000_NS17warp_store_methodE3E15HIP_vector_typeIfLj2EEEvPT3_S6_,@function
_Z17warp_store_kernelILj1024ELj4ELj32ELN7rocprim17ROCPRIM_304000_NS17warp_store_methodE3E15HIP_vector_typeIfLj2EEEvPT3_S6_: ; @_Z17warp_store_kernelILj1024ELj4ELj32ELN7rocprim17ROCPRIM_304000_NS17warp_store_methodE3E15HIP_vector_typeIfLj2EEEvPT3_S6_
; %bb.0:
	s_load_b128 s[0:3], s[0:1], 0x0
	v_lshlrev_b32_e32 v8, 5, v0
	v_mbcnt_lo_u32_b32 v9, -1, 0
	s_waitcnt lgkmcnt(0)
	s_clause 0x1
	global_load_b128 v[0:3], v8, s[0:1]
	global_load_b128 v[4:7], v8, s[0:1] offset:16
	v_and_b32_e32 v8, 0x7c00, v8
	v_lshlrev_b32_e32 v10, 3, v9
	s_delay_alu instid0(VALU_DEP_2) | instskip(NEXT) | instid1(VALU_DEP_2)
	v_lshl_or_b32 v9, v9, 5, v8
	v_or_b32_e32 v11, v8, v10
	v_add_co_u32 v8, s0, s2, v8
	s_waitcnt vmcnt(1)
	ds_store_b128 v9, v[0:3]
	s_waitcnt vmcnt(0)
	ds_store_b128 v9, v[4:7] offset:16
	; wave barrier
	ds_load_2addr_b64 v[0:3], v11 offset1:32
	ds_load_2addr_b64 v[4:7], v11 offset0:64 offset1:96
	v_add_co_ci_u32_e64 v9, null, s3, 0, s0
	v_add_co_u32 v8, vcc_lo, v8, v10
	s_delay_alu instid0(VALU_DEP_2)
	v_add_co_ci_u32_e32 v9, vcc_lo, 0, v9, vcc_lo
	s_waitcnt lgkmcnt(1)
	s_clause 0x1
	global_store_b64 v[8:9], v[0:1], off
	global_store_b64 v[8:9], v[2:3], off offset:256
	s_waitcnt lgkmcnt(0)
	s_clause 0x1
	global_store_b64 v[8:9], v[4:5], off offset:512
	global_store_b64 v[8:9], v[6:7], off offset:768
	s_nop 0
	s_sendmsg sendmsg(MSG_DEALLOC_VGPRS)
	s_endpgm
	.section	.rodata,"a",@progbits
	.p2align	6, 0x0
	.amdhsa_kernel _Z17warp_store_kernelILj1024ELj4ELj32ELN7rocprim17ROCPRIM_304000_NS17warp_store_methodE3E15HIP_vector_typeIfLj2EEEvPT3_S6_
		.amdhsa_group_segment_fixed_size 32768
		.amdhsa_private_segment_fixed_size 0
		.amdhsa_kernarg_size 16
		.amdhsa_user_sgpr_count 15
		.amdhsa_user_sgpr_dispatch_ptr 0
		.amdhsa_user_sgpr_queue_ptr 0
		.amdhsa_user_sgpr_kernarg_segment_ptr 1
		.amdhsa_user_sgpr_dispatch_id 0
		.amdhsa_user_sgpr_private_segment_size 0
		.amdhsa_wavefront_size32 1
		.amdhsa_uses_dynamic_stack 0
		.amdhsa_enable_private_segment 0
		.amdhsa_system_sgpr_workgroup_id_x 1
		.amdhsa_system_sgpr_workgroup_id_y 0
		.amdhsa_system_sgpr_workgroup_id_z 0
		.amdhsa_system_sgpr_workgroup_info 0
		.amdhsa_system_vgpr_workitem_id 0
		.amdhsa_next_free_vgpr 12
		.amdhsa_next_free_sgpr 4
		.amdhsa_reserve_vcc 1
		.amdhsa_float_round_mode_32 0
		.amdhsa_float_round_mode_16_64 0
		.amdhsa_float_denorm_mode_32 3
		.amdhsa_float_denorm_mode_16_64 3
		.amdhsa_dx10_clamp 1
		.amdhsa_ieee_mode 1
		.amdhsa_fp16_overflow 0
		.amdhsa_workgroup_processor_mode 1
		.amdhsa_memory_ordered 1
		.amdhsa_forward_progress 0
		.amdhsa_shared_vgpr_count 0
		.amdhsa_exception_fp_ieee_invalid_op 0
		.amdhsa_exception_fp_denorm_src 0
		.amdhsa_exception_fp_ieee_div_zero 0
		.amdhsa_exception_fp_ieee_overflow 0
		.amdhsa_exception_fp_ieee_underflow 0
		.amdhsa_exception_fp_ieee_inexact 0
		.amdhsa_exception_int_div_zero 0
	.end_amdhsa_kernel
	.section	.text._Z17warp_store_kernelILj1024ELj4ELj32ELN7rocprim17ROCPRIM_304000_NS17warp_store_methodE3E15HIP_vector_typeIfLj2EEEvPT3_S6_,"axG",@progbits,_Z17warp_store_kernelILj1024ELj4ELj32ELN7rocprim17ROCPRIM_304000_NS17warp_store_methodE3E15HIP_vector_typeIfLj2EEEvPT3_S6_,comdat
.Lfunc_end20:
	.size	_Z17warp_store_kernelILj1024ELj4ELj32ELN7rocprim17ROCPRIM_304000_NS17warp_store_methodE3E15HIP_vector_typeIfLj2EEEvPT3_S6_, .Lfunc_end20-_Z17warp_store_kernelILj1024ELj4ELj32ELN7rocprim17ROCPRIM_304000_NS17warp_store_methodE3E15HIP_vector_typeIfLj2EEEvPT3_S6_
                                        ; -- End function
	.section	.AMDGPU.csdata,"",@progbits
; Kernel info:
; codeLenInByte = 204
; NumSgprs: 6
; NumVgprs: 12
; ScratchSize: 0
; MemoryBound: 1
; FloatMode: 240
; IeeeMode: 1
; LDSByteSize: 32768 bytes/workgroup (compile time only)
; SGPRBlocks: 0
; VGPRBlocks: 1
; NumSGPRsForWavesPerEU: 6
; NumVGPRsForWavesPerEU: 12
; Occupancy: 16
; WaveLimiterHint : 1
; COMPUTE_PGM_RSRC2:SCRATCH_EN: 0
; COMPUTE_PGM_RSRC2:USER_SGPR: 15
; COMPUTE_PGM_RSRC2:TRAP_HANDLER: 0
; COMPUTE_PGM_RSRC2:TGID_X_EN: 1
; COMPUTE_PGM_RSRC2:TGID_Y_EN: 0
; COMPUTE_PGM_RSRC2:TGID_Z_EN: 0
; COMPUTE_PGM_RSRC2:TIDIG_COMP_CNT: 0
	.section	.text._Z17warp_store_kernelILj1024ELj4ELj32ELN7rocprim17ROCPRIM_304000_NS17warp_store_methodE2E15HIP_vector_typeIfLj2EEEvPT3_S6_,"axG",@progbits,_Z17warp_store_kernelILj1024ELj4ELj32ELN7rocprim17ROCPRIM_304000_NS17warp_store_methodE2E15HIP_vector_typeIfLj2EEEvPT3_S6_,comdat
	.protected	_Z17warp_store_kernelILj1024ELj4ELj32ELN7rocprim17ROCPRIM_304000_NS17warp_store_methodE2E15HIP_vector_typeIfLj2EEEvPT3_S6_ ; -- Begin function _Z17warp_store_kernelILj1024ELj4ELj32ELN7rocprim17ROCPRIM_304000_NS17warp_store_methodE2E15HIP_vector_typeIfLj2EEEvPT3_S6_
	.globl	_Z17warp_store_kernelILj1024ELj4ELj32ELN7rocprim17ROCPRIM_304000_NS17warp_store_methodE2E15HIP_vector_typeIfLj2EEEvPT3_S6_
	.p2align	8
	.type	_Z17warp_store_kernelILj1024ELj4ELj32ELN7rocprim17ROCPRIM_304000_NS17warp_store_methodE2E15HIP_vector_typeIfLj2EEEvPT3_S6_,@function
_Z17warp_store_kernelILj1024ELj4ELj32ELN7rocprim17ROCPRIM_304000_NS17warp_store_methodE2E15HIP_vector_typeIfLj2EEEvPT3_S6_: ; @_Z17warp_store_kernelILj1024ELj4ELj32ELN7rocprim17ROCPRIM_304000_NS17warp_store_methodE2E15HIP_vector_typeIfLj2EEEvPT3_S6_
; %bb.0:
	s_load_b128 s[0:3], s[0:1], 0x0
	v_lshlrev_b32_e32 v8, 5, v0
	v_mbcnt_lo_u32_b32 v9, -1, 0
	s_waitcnt lgkmcnt(0)
	s_clause 0x1
	global_load_b128 v[0:3], v8, s[0:1]
	global_load_b128 v[4:7], v8, s[0:1] offset:16
	v_and_b32_e32 v8, 0x7c00, v8
	v_lshlrev_b32_e32 v9, 5, v9
	s_delay_alu instid0(VALU_DEP_2) | instskip(NEXT) | instid1(VALU_DEP_1)
	v_add_co_u32 v8, s0, s2, v8
	v_add_co_ci_u32_e64 v10, null, s3, 0, s0
	s_delay_alu instid0(VALU_DEP_2) | instskip(NEXT) | instid1(VALU_DEP_2)
	v_add_co_u32 v8, vcc_lo, v8, v9
	v_add_co_ci_u32_e32 v9, vcc_lo, 0, v10, vcc_lo
	s_waitcnt vmcnt(1)
	global_store_b128 v[8:9], v[0:3], off
	s_waitcnt vmcnt(0)
	global_store_b128 v[8:9], v[4:7], off offset:16
	s_nop 0
	s_sendmsg sendmsg(MSG_DEALLOC_VGPRS)
	s_endpgm
	.section	.rodata,"a",@progbits
	.p2align	6, 0x0
	.amdhsa_kernel _Z17warp_store_kernelILj1024ELj4ELj32ELN7rocprim17ROCPRIM_304000_NS17warp_store_methodE2E15HIP_vector_typeIfLj2EEEvPT3_S6_
		.amdhsa_group_segment_fixed_size 0
		.amdhsa_private_segment_fixed_size 0
		.amdhsa_kernarg_size 16
		.amdhsa_user_sgpr_count 15
		.amdhsa_user_sgpr_dispatch_ptr 0
		.amdhsa_user_sgpr_queue_ptr 0
		.amdhsa_user_sgpr_kernarg_segment_ptr 1
		.amdhsa_user_sgpr_dispatch_id 0
		.amdhsa_user_sgpr_private_segment_size 0
		.amdhsa_wavefront_size32 1
		.amdhsa_uses_dynamic_stack 0
		.amdhsa_enable_private_segment 0
		.amdhsa_system_sgpr_workgroup_id_x 1
		.amdhsa_system_sgpr_workgroup_id_y 0
		.amdhsa_system_sgpr_workgroup_id_z 0
		.amdhsa_system_sgpr_workgroup_info 0
		.amdhsa_system_vgpr_workitem_id 0
		.amdhsa_next_free_vgpr 11
		.amdhsa_next_free_sgpr 4
		.amdhsa_reserve_vcc 1
		.amdhsa_float_round_mode_32 0
		.amdhsa_float_round_mode_16_64 0
		.amdhsa_float_denorm_mode_32 3
		.amdhsa_float_denorm_mode_16_64 3
		.amdhsa_dx10_clamp 1
		.amdhsa_ieee_mode 1
		.amdhsa_fp16_overflow 0
		.amdhsa_workgroup_processor_mode 1
		.amdhsa_memory_ordered 1
		.amdhsa_forward_progress 0
		.amdhsa_shared_vgpr_count 0
		.amdhsa_exception_fp_ieee_invalid_op 0
		.amdhsa_exception_fp_denorm_src 0
		.amdhsa_exception_fp_ieee_div_zero 0
		.amdhsa_exception_fp_ieee_overflow 0
		.amdhsa_exception_fp_ieee_underflow 0
		.amdhsa_exception_fp_ieee_inexact 0
		.amdhsa_exception_int_div_zero 0
	.end_amdhsa_kernel
	.section	.text._Z17warp_store_kernelILj1024ELj4ELj32ELN7rocprim17ROCPRIM_304000_NS17warp_store_methodE2E15HIP_vector_typeIfLj2EEEvPT3_S6_,"axG",@progbits,_Z17warp_store_kernelILj1024ELj4ELj32ELN7rocprim17ROCPRIM_304000_NS17warp_store_methodE2E15HIP_vector_typeIfLj2EEEvPT3_S6_,comdat
.Lfunc_end21:
	.size	_Z17warp_store_kernelILj1024ELj4ELj32ELN7rocprim17ROCPRIM_304000_NS17warp_store_methodE2E15HIP_vector_typeIfLj2EEEvPT3_S6_, .Lfunc_end21-_Z17warp_store_kernelILj1024ELj4ELj32ELN7rocprim17ROCPRIM_304000_NS17warp_store_methodE2E15HIP_vector_typeIfLj2EEEvPT3_S6_
                                        ; -- End function
	.section	.AMDGPU.csdata,"",@progbits
; Kernel info:
; codeLenInByte = 128
; NumSgprs: 6
; NumVgprs: 11
; ScratchSize: 0
; MemoryBound: 0
; FloatMode: 240
; IeeeMode: 1
; LDSByteSize: 0 bytes/workgroup (compile time only)
; SGPRBlocks: 0
; VGPRBlocks: 1
; NumSGPRsForWavesPerEU: 6
; NumVGPRsForWavesPerEU: 11
; Occupancy: 16
; WaveLimiterHint : 0
; COMPUTE_PGM_RSRC2:SCRATCH_EN: 0
; COMPUTE_PGM_RSRC2:USER_SGPR: 15
; COMPUTE_PGM_RSRC2:TRAP_HANDLER: 0
; COMPUTE_PGM_RSRC2:TGID_X_EN: 1
; COMPUTE_PGM_RSRC2:TGID_Y_EN: 0
; COMPUTE_PGM_RSRC2:TGID_Z_EN: 0
; COMPUTE_PGM_RSRC2:TIDIG_COMP_CNT: 0
	.section	.text._Z17warp_store_kernelILj1024ELj4ELj32ELN7rocprim17ROCPRIM_304000_NS17warp_store_methodE1E15HIP_vector_typeIfLj2EEEvPT3_S6_,"axG",@progbits,_Z17warp_store_kernelILj1024ELj4ELj32ELN7rocprim17ROCPRIM_304000_NS17warp_store_methodE1E15HIP_vector_typeIfLj2EEEvPT3_S6_,comdat
	.protected	_Z17warp_store_kernelILj1024ELj4ELj32ELN7rocprim17ROCPRIM_304000_NS17warp_store_methodE1E15HIP_vector_typeIfLj2EEEvPT3_S6_ ; -- Begin function _Z17warp_store_kernelILj1024ELj4ELj32ELN7rocprim17ROCPRIM_304000_NS17warp_store_methodE1E15HIP_vector_typeIfLj2EEEvPT3_S6_
	.globl	_Z17warp_store_kernelILj1024ELj4ELj32ELN7rocprim17ROCPRIM_304000_NS17warp_store_methodE1E15HIP_vector_typeIfLj2EEEvPT3_S6_
	.p2align	8
	.type	_Z17warp_store_kernelILj1024ELj4ELj32ELN7rocprim17ROCPRIM_304000_NS17warp_store_methodE1E15HIP_vector_typeIfLj2EEEvPT3_S6_,@function
_Z17warp_store_kernelILj1024ELj4ELj32ELN7rocprim17ROCPRIM_304000_NS17warp_store_methodE1E15HIP_vector_typeIfLj2EEEvPT3_S6_: ; @_Z17warp_store_kernelILj1024ELj4ELj32ELN7rocprim17ROCPRIM_304000_NS17warp_store_methodE1E15HIP_vector_typeIfLj2EEEvPT3_S6_
; %bb.0:
	s_load_b128 s[0:3], s[0:1], 0x0
	v_lshlrev_b32_e32 v8, 5, v0
	v_mbcnt_lo_u32_b32 v9, -1, 0
	s_waitcnt lgkmcnt(0)
	s_clause 0x1
	global_load_b128 v[0:3], v8, s[0:1]
	global_load_b128 v[4:7], v8, s[0:1] offset:16
	v_and_b32_e32 v8, 0x7c00, v8
	v_lshlrev_b32_e32 v9, 3, v9
	s_delay_alu instid0(VALU_DEP_2) | instskip(NEXT) | instid1(VALU_DEP_1)
	v_add_co_u32 v8, s0, s2, v8
	v_add_co_ci_u32_e64 v10, null, s3, 0, s0
	s_delay_alu instid0(VALU_DEP_2) | instskip(NEXT) | instid1(VALU_DEP_2)
	v_add_co_u32 v8, vcc_lo, v8, v9
	v_add_co_ci_u32_e32 v9, vcc_lo, 0, v10, vcc_lo
	s_waitcnt vmcnt(1)
	s_clause 0x1
	global_store_b64 v[8:9], v[0:1], off
	global_store_b64 v[8:9], v[2:3], off offset:256
	s_waitcnt vmcnt(0)
	s_clause 0x1
	global_store_b64 v[8:9], v[4:5], off offset:512
	global_store_b64 v[8:9], v[6:7], off offset:768
	s_nop 0
	s_sendmsg sendmsg(MSG_DEALLOC_VGPRS)
	s_endpgm
	.section	.rodata,"a",@progbits
	.p2align	6, 0x0
	.amdhsa_kernel _Z17warp_store_kernelILj1024ELj4ELj32ELN7rocprim17ROCPRIM_304000_NS17warp_store_methodE1E15HIP_vector_typeIfLj2EEEvPT3_S6_
		.amdhsa_group_segment_fixed_size 0
		.amdhsa_private_segment_fixed_size 0
		.amdhsa_kernarg_size 16
		.amdhsa_user_sgpr_count 15
		.amdhsa_user_sgpr_dispatch_ptr 0
		.amdhsa_user_sgpr_queue_ptr 0
		.amdhsa_user_sgpr_kernarg_segment_ptr 1
		.amdhsa_user_sgpr_dispatch_id 0
		.amdhsa_user_sgpr_private_segment_size 0
		.amdhsa_wavefront_size32 1
		.amdhsa_uses_dynamic_stack 0
		.amdhsa_enable_private_segment 0
		.amdhsa_system_sgpr_workgroup_id_x 1
		.amdhsa_system_sgpr_workgroup_id_y 0
		.amdhsa_system_sgpr_workgroup_id_z 0
		.amdhsa_system_sgpr_workgroup_info 0
		.amdhsa_system_vgpr_workitem_id 0
		.amdhsa_next_free_vgpr 11
		.amdhsa_next_free_sgpr 4
		.amdhsa_reserve_vcc 1
		.amdhsa_float_round_mode_32 0
		.amdhsa_float_round_mode_16_64 0
		.amdhsa_float_denorm_mode_32 3
		.amdhsa_float_denorm_mode_16_64 3
		.amdhsa_dx10_clamp 1
		.amdhsa_ieee_mode 1
		.amdhsa_fp16_overflow 0
		.amdhsa_workgroup_processor_mode 1
		.amdhsa_memory_ordered 1
		.amdhsa_forward_progress 0
		.amdhsa_shared_vgpr_count 0
		.amdhsa_exception_fp_ieee_invalid_op 0
		.amdhsa_exception_fp_denorm_src 0
		.amdhsa_exception_fp_ieee_div_zero 0
		.amdhsa_exception_fp_ieee_overflow 0
		.amdhsa_exception_fp_ieee_underflow 0
		.amdhsa_exception_fp_ieee_inexact 0
		.amdhsa_exception_int_div_zero 0
	.end_amdhsa_kernel
	.section	.text._Z17warp_store_kernelILj1024ELj4ELj32ELN7rocprim17ROCPRIM_304000_NS17warp_store_methodE1E15HIP_vector_typeIfLj2EEEvPT3_S6_,"axG",@progbits,_Z17warp_store_kernelILj1024ELj4ELj32ELN7rocprim17ROCPRIM_304000_NS17warp_store_methodE1E15HIP_vector_typeIfLj2EEEvPT3_S6_,comdat
.Lfunc_end22:
	.size	_Z17warp_store_kernelILj1024ELj4ELj32ELN7rocprim17ROCPRIM_304000_NS17warp_store_methodE1E15HIP_vector_typeIfLj2EEEvPT3_S6_, .Lfunc_end22-_Z17warp_store_kernelILj1024ELj4ELj32ELN7rocprim17ROCPRIM_304000_NS17warp_store_methodE1E15HIP_vector_typeIfLj2EEEvPT3_S6_
                                        ; -- End function
	.section	.AMDGPU.csdata,"",@progbits
; Kernel info:
; codeLenInByte = 152
; NumSgprs: 6
; NumVgprs: 11
; ScratchSize: 0
; MemoryBound: 0
; FloatMode: 240
; IeeeMode: 1
; LDSByteSize: 0 bytes/workgroup (compile time only)
; SGPRBlocks: 0
; VGPRBlocks: 1
; NumSGPRsForWavesPerEU: 6
; NumVGPRsForWavesPerEU: 11
; Occupancy: 16
; WaveLimiterHint : 1
; COMPUTE_PGM_RSRC2:SCRATCH_EN: 0
; COMPUTE_PGM_RSRC2:USER_SGPR: 15
; COMPUTE_PGM_RSRC2:TRAP_HANDLER: 0
; COMPUTE_PGM_RSRC2:TGID_X_EN: 1
; COMPUTE_PGM_RSRC2:TGID_Y_EN: 0
; COMPUTE_PGM_RSRC2:TGID_Z_EN: 0
; COMPUTE_PGM_RSRC2:TIDIG_COMP_CNT: 0
	.section	.text._Z17warp_store_kernelILj1024ELj4ELj32ELN7rocprim17ROCPRIM_304000_NS17warp_store_methodE0E15HIP_vector_typeIfLj2EEEvPT3_S6_,"axG",@progbits,_Z17warp_store_kernelILj1024ELj4ELj32ELN7rocprim17ROCPRIM_304000_NS17warp_store_methodE0E15HIP_vector_typeIfLj2EEEvPT3_S6_,comdat
	.protected	_Z17warp_store_kernelILj1024ELj4ELj32ELN7rocprim17ROCPRIM_304000_NS17warp_store_methodE0E15HIP_vector_typeIfLj2EEEvPT3_S6_ ; -- Begin function _Z17warp_store_kernelILj1024ELj4ELj32ELN7rocprim17ROCPRIM_304000_NS17warp_store_methodE0E15HIP_vector_typeIfLj2EEEvPT3_S6_
	.globl	_Z17warp_store_kernelILj1024ELj4ELj32ELN7rocprim17ROCPRIM_304000_NS17warp_store_methodE0E15HIP_vector_typeIfLj2EEEvPT3_S6_
	.p2align	8
	.type	_Z17warp_store_kernelILj1024ELj4ELj32ELN7rocprim17ROCPRIM_304000_NS17warp_store_methodE0E15HIP_vector_typeIfLj2EEEvPT3_S6_,@function
_Z17warp_store_kernelILj1024ELj4ELj32ELN7rocprim17ROCPRIM_304000_NS17warp_store_methodE0E15HIP_vector_typeIfLj2EEEvPT3_S6_: ; @_Z17warp_store_kernelILj1024ELj4ELj32ELN7rocprim17ROCPRIM_304000_NS17warp_store_methodE0E15HIP_vector_typeIfLj2EEEvPT3_S6_
; %bb.0:
	s_load_b128 s[0:3], s[0:1], 0x0
	v_lshlrev_b32_e32 v8, 5, v0
	v_mbcnt_lo_u32_b32 v9, -1, 0
	s_waitcnt lgkmcnt(0)
	s_clause 0x1
	global_load_b128 v[0:3], v8, s[0:1]
	global_load_b128 v[4:7], v8, s[0:1] offset:16
	v_and_b32_e32 v8, 0x7c00, v8
	v_lshlrev_b32_e32 v9, 5, v9
	s_delay_alu instid0(VALU_DEP_2) | instskip(NEXT) | instid1(VALU_DEP_1)
	v_add_co_u32 v8, s0, s2, v8
	v_add_co_ci_u32_e64 v10, null, s3, 0, s0
	s_delay_alu instid0(VALU_DEP_2) | instskip(NEXT) | instid1(VALU_DEP_2)
	v_add_co_u32 v8, vcc_lo, v8, v9
	v_add_co_ci_u32_e32 v9, vcc_lo, 0, v10, vcc_lo
	s_waitcnt vmcnt(1)
	global_store_b128 v[8:9], v[0:3], off
	s_waitcnt vmcnt(0)
	global_store_b128 v[8:9], v[4:7], off offset:16
	s_nop 0
	s_sendmsg sendmsg(MSG_DEALLOC_VGPRS)
	s_endpgm
	.section	.rodata,"a",@progbits
	.p2align	6, 0x0
	.amdhsa_kernel _Z17warp_store_kernelILj1024ELj4ELj32ELN7rocprim17ROCPRIM_304000_NS17warp_store_methodE0E15HIP_vector_typeIfLj2EEEvPT3_S6_
		.amdhsa_group_segment_fixed_size 0
		.amdhsa_private_segment_fixed_size 0
		.amdhsa_kernarg_size 16
		.amdhsa_user_sgpr_count 15
		.amdhsa_user_sgpr_dispatch_ptr 0
		.amdhsa_user_sgpr_queue_ptr 0
		.amdhsa_user_sgpr_kernarg_segment_ptr 1
		.amdhsa_user_sgpr_dispatch_id 0
		.amdhsa_user_sgpr_private_segment_size 0
		.amdhsa_wavefront_size32 1
		.amdhsa_uses_dynamic_stack 0
		.amdhsa_enable_private_segment 0
		.amdhsa_system_sgpr_workgroup_id_x 1
		.amdhsa_system_sgpr_workgroup_id_y 0
		.amdhsa_system_sgpr_workgroup_id_z 0
		.amdhsa_system_sgpr_workgroup_info 0
		.amdhsa_system_vgpr_workitem_id 0
		.amdhsa_next_free_vgpr 11
		.amdhsa_next_free_sgpr 4
		.amdhsa_reserve_vcc 1
		.amdhsa_float_round_mode_32 0
		.amdhsa_float_round_mode_16_64 0
		.amdhsa_float_denorm_mode_32 3
		.amdhsa_float_denorm_mode_16_64 3
		.amdhsa_dx10_clamp 1
		.amdhsa_ieee_mode 1
		.amdhsa_fp16_overflow 0
		.amdhsa_workgroup_processor_mode 1
		.amdhsa_memory_ordered 1
		.amdhsa_forward_progress 0
		.amdhsa_shared_vgpr_count 0
		.amdhsa_exception_fp_ieee_invalid_op 0
		.amdhsa_exception_fp_denorm_src 0
		.amdhsa_exception_fp_ieee_div_zero 0
		.amdhsa_exception_fp_ieee_overflow 0
		.amdhsa_exception_fp_ieee_underflow 0
		.amdhsa_exception_fp_ieee_inexact 0
		.amdhsa_exception_int_div_zero 0
	.end_amdhsa_kernel
	.section	.text._Z17warp_store_kernelILj1024ELj4ELj32ELN7rocprim17ROCPRIM_304000_NS17warp_store_methodE0E15HIP_vector_typeIfLj2EEEvPT3_S6_,"axG",@progbits,_Z17warp_store_kernelILj1024ELj4ELj32ELN7rocprim17ROCPRIM_304000_NS17warp_store_methodE0E15HIP_vector_typeIfLj2EEEvPT3_S6_,comdat
.Lfunc_end23:
	.size	_Z17warp_store_kernelILj1024ELj4ELj32ELN7rocprim17ROCPRIM_304000_NS17warp_store_methodE0E15HIP_vector_typeIfLj2EEEvPT3_S6_, .Lfunc_end23-_Z17warp_store_kernelILj1024ELj4ELj32ELN7rocprim17ROCPRIM_304000_NS17warp_store_methodE0E15HIP_vector_typeIfLj2EEEvPT3_S6_
                                        ; -- End function
	.section	.AMDGPU.csdata,"",@progbits
; Kernel info:
; codeLenInByte = 128
; NumSgprs: 6
; NumVgprs: 11
; ScratchSize: 0
; MemoryBound: 0
; FloatMode: 240
; IeeeMode: 1
; LDSByteSize: 0 bytes/workgroup (compile time only)
; SGPRBlocks: 0
; VGPRBlocks: 1
; NumSGPRsForWavesPerEU: 6
; NumVGPRsForWavesPerEU: 11
; Occupancy: 16
; WaveLimiterHint : 0
; COMPUTE_PGM_RSRC2:SCRATCH_EN: 0
; COMPUTE_PGM_RSRC2:USER_SGPR: 15
; COMPUTE_PGM_RSRC2:TRAP_HANDLER: 0
; COMPUTE_PGM_RSRC2:TGID_X_EN: 1
; COMPUTE_PGM_RSRC2:TGID_Y_EN: 0
; COMPUTE_PGM_RSRC2:TGID_Z_EN: 0
; COMPUTE_PGM_RSRC2:TIDIG_COMP_CNT: 0
	.section	.text._Z17warp_store_kernelILj1024ELj4ELj64ELN7rocprim17ROCPRIM_304000_NS17warp_store_methodE3EiEvPT3_S4_,"axG",@progbits,_Z17warp_store_kernelILj1024ELj4ELj64ELN7rocprim17ROCPRIM_304000_NS17warp_store_methodE3EiEvPT3_S4_,comdat
	.protected	_Z17warp_store_kernelILj1024ELj4ELj64ELN7rocprim17ROCPRIM_304000_NS17warp_store_methodE3EiEvPT3_S4_ ; -- Begin function _Z17warp_store_kernelILj1024ELj4ELj64ELN7rocprim17ROCPRIM_304000_NS17warp_store_methodE3EiEvPT3_S4_
	.globl	_Z17warp_store_kernelILj1024ELj4ELj64ELN7rocprim17ROCPRIM_304000_NS17warp_store_methodE3EiEvPT3_S4_
	.p2align	8
	.type	_Z17warp_store_kernelILj1024ELj4ELj64ELN7rocprim17ROCPRIM_304000_NS17warp_store_methodE3EiEvPT3_S4_,@function
_Z17warp_store_kernelILj1024ELj4ELj64ELN7rocprim17ROCPRIM_304000_NS17warp_store_methodE3EiEvPT3_S4_: ; @_Z17warp_store_kernelILj1024ELj4ELj64ELN7rocprim17ROCPRIM_304000_NS17warp_store_methodE3EiEvPT3_S4_
; %bb.0:
	s_endpgm
	.section	.rodata,"a",@progbits
	.p2align	6, 0x0
	.amdhsa_kernel _Z17warp_store_kernelILj1024ELj4ELj64ELN7rocprim17ROCPRIM_304000_NS17warp_store_methodE3EiEvPT3_S4_
		.amdhsa_group_segment_fixed_size 0
		.amdhsa_private_segment_fixed_size 0
		.amdhsa_kernarg_size 16
		.amdhsa_user_sgpr_count 15
		.amdhsa_user_sgpr_dispatch_ptr 0
		.amdhsa_user_sgpr_queue_ptr 0
		.amdhsa_user_sgpr_kernarg_segment_ptr 1
		.amdhsa_user_sgpr_dispatch_id 0
		.amdhsa_user_sgpr_private_segment_size 0
		.amdhsa_wavefront_size32 1
		.amdhsa_uses_dynamic_stack 0
		.amdhsa_enable_private_segment 0
		.amdhsa_system_sgpr_workgroup_id_x 1
		.amdhsa_system_sgpr_workgroup_id_y 0
		.amdhsa_system_sgpr_workgroup_id_z 0
		.amdhsa_system_sgpr_workgroup_info 0
		.amdhsa_system_vgpr_workitem_id 0
		.amdhsa_next_free_vgpr 1
		.amdhsa_next_free_sgpr 1
		.amdhsa_reserve_vcc 0
		.amdhsa_float_round_mode_32 0
		.amdhsa_float_round_mode_16_64 0
		.amdhsa_float_denorm_mode_32 3
		.amdhsa_float_denorm_mode_16_64 3
		.amdhsa_dx10_clamp 1
		.amdhsa_ieee_mode 1
		.amdhsa_fp16_overflow 0
		.amdhsa_workgroup_processor_mode 1
		.amdhsa_memory_ordered 1
		.amdhsa_forward_progress 0
		.amdhsa_shared_vgpr_count 0
		.amdhsa_exception_fp_ieee_invalid_op 0
		.amdhsa_exception_fp_denorm_src 0
		.amdhsa_exception_fp_ieee_div_zero 0
		.amdhsa_exception_fp_ieee_overflow 0
		.amdhsa_exception_fp_ieee_underflow 0
		.amdhsa_exception_fp_ieee_inexact 0
		.amdhsa_exception_int_div_zero 0
	.end_amdhsa_kernel
	.section	.text._Z17warp_store_kernelILj1024ELj4ELj64ELN7rocprim17ROCPRIM_304000_NS17warp_store_methodE3EiEvPT3_S4_,"axG",@progbits,_Z17warp_store_kernelILj1024ELj4ELj64ELN7rocprim17ROCPRIM_304000_NS17warp_store_methodE3EiEvPT3_S4_,comdat
.Lfunc_end24:
	.size	_Z17warp_store_kernelILj1024ELj4ELj64ELN7rocprim17ROCPRIM_304000_NS17warp_store_methodE3EiEvPT3_S4_, .Lfunc_end24-_Z17warp_store_kernelILj1024ELj4ELj64ELN7rocprim17ROCPRIM_304000_NS17warp_store_methodE3EiEvPT3_S4_
                                        ; -- End function
	.section	.AMDGPU.csdata,"",@progbits
; Kernel info:
; codeLenInByte = 4
; NumSgprs: 0
; NumVgprs: 0
; ScratchSize: 0
; MemoryBound: 0
; FloatMode: 240
; IeeeMode: 1
; LDSByteSize: 0 bytes/workgroup (compile time only)
; SGPRBlocks: 0
; VGPRBlocks: 0
; NumSGPRsForWavesPerEU: 1
; NumVGPRsForWavesPerEU: 1
; Occupancy: 16
; WaveLimiterHint : 0
; COMPUTE_PGM_RSRC2:SCRATCH_EN: 0
; COMPUTE_PGM_RSRC2:USER_SGPR: 15
; COMPUTE_PGM_RSRC2:TRAP_HANDLER: 0
; COMPUTE_PGM_RSRC2:TGID_X_EN: 1
; COMPUTE_PGM_RSRC2:TGID_Y_EN: 0
; COMPUTE_PGM_RSRC2:TGID_Z_EN: 0
; COMPUTE_PGM_RSRC2:TIDIG_COMP_CNT: 0
	.section	.text._Z17warp_store_kernelILj1024ELj4ELj64ELN7rocprim17ROCPRIM_304000_NS17warp_store_methodE2EiEvPT3_S4_,"axG",@progbits,_Z17warp_store_kernelILj1024ELj4ELj64ELN7rocprim17ROCPRIM_304000_NS17warp_store_methodE2EiEvPT3_S4_,comdat
	.protected	_Z17warp_store_kernelILj1024ELj4ELj64ELN7rocprim17ROCPRIM_304000_NS17warp_store_methodE2EiEvPT3_S4_ ; -- Begin function _Z17warp_store_kernelILj1024ELj4ELj64ELN7rocprim17ROCPRIM_304000_NS17warp_store_methodE2EiEvPT3_S4_
	.globl	_Z17warp_store_kernelILj1024ELj4ELj64ELN7rocprim17ROCPRIM_304000_NS17warp_store_methodE2EiEvPT3_S4_
	.p2align	8
	.type	_Z17warp_store_kernelILj1024ELj4ELj64ELN7rocprim17ROCPRIM_304000_NS17warp_store_methodE2EiEvPT3_S4_,@function
_Z17warp_store_kernelILj1024ELj4ELj64ELN7rocprim17ROCPRIM_304000_NS17warp_store_methodE2EiEvPT3_S4_: ; @_Z17warp_store_kernelILj1024ELj4ELj64ELN7rocprim17ROCPRIM_304000_NS17warp_store_methodE2EiEvPT3_S4_
; %bb.0:
	s_endpgm
	.section	.rodata,"a",@progbits
	.p2align	6, 0x0
	.amdhsa_kernel _Z17warp_store_kernelILj1024ELj4ELj64ELN7rocprim17ROCPRIM_304000_NS17warp_store_methodE2EiEvPT3_S4_
		.amdhsa_group_segment_fixed_size 0
		.amdhsa_private_segment_fixed_size 0
		.amdhsa_kernarg_size 16
		.amdhsa_user_sgpr_count 15
		.amdhsa_user_sgpr_dispatch_ptr 0
		.amdhsa_user_sgpr_queue_ptr 0
		.amdhsa_user_sgpr_kernarg_segment_ptr 1
		.amdhsa_user_sgpr_dispatch_id 0
		.amdhsa_user_sgpr_private_segment_size 0
		.amdhsa_wavefront_size32 1
		.amdhsa_uses_dynamic_stack 0
		.amdhsa_enable_private_segment 0
		.amdhsa_system_sgpr_workgroup_id_x 1
		.amdhsa_system_sgpr_workgroup_id_y 0
		.amdhsa_system_sgpr_workgroup_id_z 0
		.amdhsa_system_sgpr_workgroup_info 0
		.amdhsa_system_vgpr_workitem_id 0
		.amdhsa_next_free_vgpr 1
		.amdhsa_next_free_sgpr 1
		.amdhsa_reserve_vcc 0
		.amdhsa_float_round_mode_32 0
		.amdhsa_float_round_mode_16_64 0
		.amdhsa_float_denorm_mode_32 3
		.amdhsa_float_denorm_mode_16_64 3
		.amdhsa_dx10_clamp 1
		.amdhsa_ieee_mode 1
		.amdhsa_fp16_overflow 0
		.amdhsa_workgroup_processor_mode 1
		.amdhsa_memory_ordered 1
		.amdhsa_forward_progress 0
		.amdhsa_shared_vgpr_count 0
		.amdhsa_exception_fp_ieee_invalid_op 0
		.amdhsa_exception_fp_denorm_src 0
		.amdhsa_exception_fp_ieee_div_zero 0
		.amdhsa_exception_fp_ieee_overflow 0
		.amdhsa_exception_fp_ieee_underflow 0
		.amdhsa_exception_fp_ieee_inexact 0
		.amdhsa_exception_int_div_zero 0
	.end_amdhsa_kernel
	.section	.text._Z17warp_store_kernelILj1024ELj4ELj64ELN7rocprim17ROCPRIM_304000_NS17warp_store_methodE2EiEvPT3_S4_,"axG",@progbits,_Z17warp_store_kernelILj1024ELj4ELj64ELN7rocprim17ROCPRIM_304000_NS17warp_store_methodE2EiEvPT3_S4_,comdat
.Lfunc_end25:
	.size	_Z17warp_store_kernelILj1024ELj4ELj64ELN7rocprim17ROCPRIM_304000_NS17warp_store_methodE2EiEvPT3_S4_, .Lfunc_end25-_Z17warp_store_kernelILj1024ELj4ELj64ELN7rocprim17ROCPRIM_304000_NS17warp_store_methodE2EiEvPT3_S4_
                                        ; -- End function
	.section	.AMDGPU.csdata,"",@progbits
; Kernel info:
; codeLenInByte = 4
; NumSgprs: 0
; NumVgprs: 0
; ScratchSize: 0
; MemoryBound: 0
; FloatMode: 240
; IeeeMode: 1
; LDSByteSize: 0 bytes/workgroup (compile time only)
; SGPRBlocks: 0
; VGPRBlocks: 0
; NumSGPRsForWavesPerEU: 1
; NumVGPRsForWavesPerEU: 1
; Occupancy: 16
; WaveLimiterHint : 0
; COMPUTE_PGM_RSRC2:SCRATCH_EN: 0
; COMPUTE_PGM_RSRC2:USER_SGPR: 15
; COMPUTE_PGM_RSRC2:TRAP_HANDLER: 0
; COMPUTE_PGM_RSRC2:TGID_X_EN: 1
; COMPUTE_PGM_RSRC2:TGID_Y_EN: 0
; COMPUTE_PGM_RSRC2:TGID_Z_EN: 0
; COMPUTE_PGM_RSRC2:TIDIG_COMP_CNT: 0
	.section	.text._Z17warp_store_kernelILj1024ELj4ELj64ELN7rocprim17ROCPRIM_304000_NS17warp_store_methodE1EiEvPT3_S4_,"axG",@progbits,_Z17warp_store_kernelILj1024ELj4ELj64ELN7rocprim17ROCPRIM_304000_NS17warp_store_methodE1EiEvPT3_S4_,comdat
	.protected	_Z17warp_store_kernelILj1024ELj4ELj64ELN7rocprim17ROCPRIM_304000_NS17warp_store_methodE1EiEvPT3_S4_ ; -- Begin function _Z17warp_store_kernelILj1024ELj4ELj64ELN7rocprim17ROCPRIM_304000_NS17warp_store_methodE1EiEvPT3_S4_
	.globl	_Z17warp_store_kernelILj1024ELj4ELj64ELN7rocprim17ROCPRIM_304000_NS17warp_store_methodE1EiEvPT3_S4_
	.p2align	8
	.type	_Z17warp_store_kernelILj1024ELj4ELj64ELN7rocprim17ROCPRIM_304000_NS17warp_store_methodE1EiEvPT3_S4_,@function
_Z17warp_store_kernelILj1024ELj4ELj64ELN7rocprim17ROCPRIM_304000_NS17warp_store_methodE1EiEvPT3_S4_: ; @_Z17warp_store_kernelILj1024ELj4ELj64ELN7rocprim17ROCPRIM_304000_NS17warp_store_methodE1EiEvPT3_S4_
; %bb.0:
	s_endpgm
	.section	.rodata,"a",@progbits
	.p2align	6, 0x0
	.amdhsa_kernel _Z17warp_store_kernelILj1024ELj4ELj64ELN7rocprim17ROCPRIM_304000_NS17warp_store_methodE1EiEvPT3_S4_
		.amdhsa_group_segment_fixed_size 0
		.amdhsa_private_segment_fixed_size 0
		.amdhsa_kernarg_size 16
		.amdhsa_user_sgpr_count 15
		.amdhsa_user_sgpr_dispatch_ptr 0
		.amdhsa_user_sgpr_queue_ptr 0
		.amdhsa_user_sgpr_kernarg_segment_ptr 1
		.amdhsa_user_sgpr_dispatch_id 0
		.amdhsa_user_sgpr_private_segment_size 0
		.amdhsa_wavefront_size32 1
		.amdhsa_uses_dynamic_stack 0
		.amdhsa_enable_private_segment 0
		.amdhsa_system_sgpr_workgroup_id_x 1
		.amdhsa_system_sgpr_workgroup_id_y 0
		.amdhsa_system_sgpr_workgroup_id_z 0
		.amdhsa_system_sgpr_workgroup_info 0
		.amdhsa_system_vgpr_workitem_id 0
		.amdhsa_next_free_vgpr 1
		.amdhsa_next_free_sgpr 1
		.amdhsa_reserve_vcc 0
		.amdhsa_float_round_mode_32 0
		.amdhsa_float_round_mode_16_64 0
		.amdhsa_float_denorm_mode_32 3
		.amdhsa_float_denorm_mode_16_64 3
		.amdhsa_dx10_clamp 1
		.amdhsa_ieee_mode 1
		.amdhsa_fp16_overflow 0
		.amdhsa_workgroup_processor_mode 1
		.amdhsa_memory_ordered 1
		.amdhsa_forward_progress 0
		.amdhsa_shared_vgpr_count 0
		.amdhsa_exception_fp_ieee_invalid_op 0
		.amdhsa_exception_fp_denorm_src 0
		.amdhsa_exception_fp_ieee_div_zero 0
		.amdhsa_exception_fp_ieee_overflow 0
		.amdhsa_exception_fp_ieee_underflow 0
		.amdhsa_exception_fp_ieee_inexact 0
		.amdhsa_exception_int_div_zero 0
	.end_amdhsa_kernel
	.section	.text._Z17warp_store_kernelILj1024ELj4ELj64ELN7rocprim17ROCPRIM_304000_NS17warp_store_methodE1EiEvPT3_S4_,"axG",@progbits,_Z17warp_store_kernelILj1024ELj4ELj64ELN7rocprim17ROCPRIM_304000_NS17warp_store_methodE1EiEvPT3_S4_,comdat
.Lfunc_end26:
	.size	_Z17warp_store_kernelILj1024ELj4ELj64ELN7rocprim17ROCPRIM_304000_NS17warp_store_methodE1EiEvPT3_S4_, .Lfunc_end26-_Z17warp_store_kernelILj1024ELj4ELj64ELN7rocprim17ROCPRIM_304000_NS17warp_store_methodE1EiEvPT3_S4_
                                        ; -- End function
	.section	.AMDGPU.csdata,"",@progbits
; Kernel info:
; codeLenInByte = 4
; NumSgprs: 0
; NumVgprs: 0
; ScratchSize: 0
; MemoryBound: 0
; FloatMode: 240
; IeeeMode: 1
; LDSByteSize: 0 bytes/workgroup (compile time only)
; SGPRBlocks: 0
; VGPRBlocks: 0
; NumSGPRsForWavesPerEU: 1
; NumVGPRsForWavesPerEU: 1
; Occupancy: 16
; WaveLimiterHint : 0
; COMPUTE_PGM_RSRC2:SCRATCH_EN: 0
; COMPUTE_PGM_RSRC2:USER_SGPR: 15
; COMPUTE_PGM_RSRC2:TRAP_HANDLER: 0
; COMPUTE_PGM_RSRC2:TGID_X_EN: 1
; COMPUTE_PGM_RSRC2:TGID_Y_EN: 0
; COMPUTE_PGM_RSRC2:TGID_Z_EN: 0
; COMPUTE_PGM_RSRC2:TIDIG_COMP_CNT: 0
	.section	.text._Z17warp_store_kernelILj1024ELj4ELj64ELN7rocprim17ROCPRIM_304000_NS17warp_store_methodE0EiEvPT3_S4_,"axG",@progbits,_Z17warp_store_kernelILj1024ELj4ELj64ELN7rocprim17ROCPRIM_304000_NS17warp_store_methodE0EiEvPT3_S4_,comdat
	.protected	_Z17warp_store_kernelILj1024ELj4ELj64ELN7rocprim17ROCPRIM_304000_NS17warp_store_methodE0EiEvPT3_S4_ ; -- Begin function _Z17warp_store_kernelILj1024ELj4ELj64ELN7rocprim17ROCPRIM_304000_NS17warp_store_methodE0EiEvPT3_S4_
	.globl	_Z17warp_store_kernelILj1024ELj4ELj64ELN7rocprim17ROCPRIM_304000_NS17warp_store_methodE0EiEvPT3_S4_
	.p2align	8
	.type	_Z17warp_store_kernelILj1024ELj4ELj64ELN7rocprim17ROCPRIM_304000_NS17warp_store_methodE0EiEvPT3_S4_,@function
_Z17warp_store_kernelILj1024ELj4ELj64ELN7rocprim17ROCPRIM_304000_NS17warp_store_methodE0EiEvPT3_S4_: ; @_Z17warp_store_kernelILj1024ELj4ELj64ELN7rocprim17ROCPRIM_304000_NS17warp_store_methodE0EiEvPT3_S4_
; %bb.0:
	s_endpgm
	.section	.rodata,"a",@progbits
	.p2align	6, 0x0
	.amdhsa_kernel _Z17warp_store_kernelILj1024ELj4ELj64ELN7rocprim17ROCPRIM_304000_NS17warp_store_methodE0EiEvPT3_S4_
		.amdhsa_group_segment_fixed_size 0
		.amdhsa_private_segment_fixed_size 0
		.amdhsa_kernarg_size 16
		.amdhsa_user_sgpr_count 15
		.amdhsa_user_sgpr_dispatch_ptr 0
		.amdhsa_user_sgpr_queue_ptr 0
		.amdhsa_user_sgpr_kernarg_segment_ptr 1
		.amdhsa_user_sgpr_dispatch_id 0
		.amdhsa_user_sgpr_private_segment_size 0
		.amdhsa_wavefront_size32 1
		.amdhsa_uses_dynamic_stack 0
		.amdhsa_enable_private_segment 0
		.amdhsa_system_sgpr_workgroup_id_x 1
		.amdhsa_system_sgpr_workgroup_id_y 0
		.amdhsa_system_sgpr_workgroup_id_z 0
		.amdhsa_system_sgpr_workgroup_info 0
		.amdhsa_system_vgpr_workitem_id 0
		.amdhsa_next_free_vgpr 1
		.amdhsa_next_free_sgpr 1
		.amdhsa_reserve_vcc 0
		.amdhsa_float_round_mode_32 0
		.amdhsa_float_round_mode_16_64 0
		.amdhsa_float_denorm_mode_32 3
		.amdhsa_float_denorm_mode_16_64 3
		.amdhsa_dx10_clamp 1
		.amdhsa_ieee_mode 1
		.amdhsa_fp16_overflow 0
		.amdhsa_workgroup_processor_mode 1
		.amdhsa_memory_ordered 1
		.amdhsa_forward_progress 0
		.amdhsa_shared_vgpr_count 0
		.amdhsa_exception_fp_ieee_invalid_op 0
		.amdhsa_exception_fp_denorm_src 0
		.amdhsa_exception_fp_ieee_div_zero 0
		.amdhsa_exception_fp_ieee_overflow 0
		.amdhsa_exception_fp_ieee_underflow 0
		.amdhsa_exception_fp_ieee_inexact 0
		.amdhsa_exception_int_div_zero 0
	.end_amdhsa_kernel
	.section	.text._Z17warp_store_kernelILj1024ELj4ELj64ELN7rocprim17ROCPRIM_304000_NS17warp_store_methodE0EiEvPT3_S4_,"axG",@progbits,_Z17warp_store_kernelILj1024ELj4ELj64ELN7rocprim17ROCPRIM_304000_NS17warp_store_methodE0EiEvPT3_S4_,comdat
.Lfunc_end27:
	.size	_Z17warp_store_kernelILj1024ELj4ELj64ELN7rocprim17ROCPRIM_304000_NS17warp_store_methodE0EiEvPT3_S4_, .Lfunc_end27-_Z17warp_store_kernelILj1024ELj4ELj64ELN7rocprim17ROCPRIM_304000_NS17warp_store_methodE0EiEvPT3_S4_
                                        ; -- End function
	.section	.AMDGPU.csdata,"",@progbits
; Kernel info:
; codeLenInByte = 4
; NumSgprs: 0
; NumVgprs: 0
; ScratchSize: 0
; MemoryBound: 0
; FloatMode: 240
; IeeeMode: 1
; LDSByteSize: 0 bytes/workgroup (compile time only)
; SGPRBlocks: 0
; VGPRBlocks: 0
; NumSGPRsForWavesPerEU: 1
; NumVGPRsForWavesPerEU: 1
; Occupancy: 16
; WaveLimiterHint : 0
; COMPUTE_PGM_RSRC2:SCRATCH_EN: 0
; COMPUTE_PGM_RSRC2:USER_SGPR: 15
; COMPUTE_PGM_RSRC2:TRAP_HANDLER: 0
; COMPUTE_PGM_RSRC2:TGID_X_EN: 1
; COMPUTE_PGM_RSRC2:TGID_Y_EN: 0
; COMPUTE_PGM_RSRC2:TGID_Z_EN: 0
; COMPUTE_PGM_RSRC2:TIDIG_COMP_CNT: 0
	.section	.text._Z17warp_store_kernelILj1024ELj5ELj32ELN7rocprim17ROCPRIM_304000_NS17warp_store_methodE3EiEvPT3_S4_,"axG",@progbits,_Z17warp_store_kernelILj1024ELj5ELj32ELN7rocprim17ROCPRIM_304000_NS17warp_store_methodE3EiEvPT3_S4_,comdat
	.protected	_Z17warp_store_kernelILj1024ELj5ELj32ELN7rocprim17ROCPRIM_304000_NS17warp_store_methodE3EiEvPT3_S4_ ; -- Begin function _Z17warp_store_kernelILj1024ELj5ELj32ELN7rocprim17ROCPRIM_304000_NS17warp_store_methodE3EiEvPT3_S4_
	.globl	_Z17warp_store_kernelILj1024ELj5ELj32ELN7rocprim17ROCPRIM_304000_NS17warp_store_methodE3EiEvPT3_S4_
	.p2align	8
	.type	_Z17warp_store_kernelILj1024ELj5ELj32ELN7rocprim17ROCPRIM_304000_NS17warp_store_methodE3EiEvPT3_S4_,@function
_Z17warp_store_kernelILj1024ELj5ELj32ELN7rocprim17ROCPRIM_304000_NS17warp_store_methodE3EiEvPT3_S4_: ; @_Z17warp_store_kernelILj1024ELj5ELj32ELN7rocprim17ROCPRIM_304000_NS17warp_store_methodE3EiEvPT3_S4_
; %bb.0:
	s_load_b128 s[0:3], s[0:1], 0x0
	v_mul_u32_u24_e32 v1, 5, v0
	v_mbcnt_lo_u32_b32 v6, -1, 0
	v_lshrrev_b32_e32 v0, 5, v0
	s_delay_alu instid0(VALU_DEP_3) | instskip(NEXT) | instid1(VALU_DEP_3)
	v_lshlrev_b32_e32 v5, 2, v1
	v_mul_u32_u24_e32 v7, 20, v6
	v_lshlrev_b32_e32 v6, 2, v6
	s_delay_alu instid0(VALU_DEP_4)
	v_mul_u32_u24_e32 v8, 0x280, v0
	v_mul_u32_u24_e32 v9, 0xa0, v0
	s_waitcnt lgkmcnt(0)
	s_clause 0x1
	global_load_b128 v[1:4], v5, s[0:1]
	global_load_b32 v5, v5, s[0:1] offset:16
	v_mad_u32_u24 v7, 0x280, v0, v7
	v_or_b32_e32 v8, v8, v6
	s_waitcnt vmcnt(1)
	ds_store_2addr_b32 v7, v1, v2 offset1:1
	ds_store_2addr_b32 v7, v3, v4 offset0:2 offset1:3
	s_waitcnt vmcnt(0)
	ds_store_b32 v7, v5 offset:16
	; wave barrier
	ds_load_2addr_b32 v[0:1], v8 offset1:32
	ds_load_2addr_b32 v[2:3], v8 offset0:64 offset1:96
	v_lshlrev_b32_e32 v4, 2, v9
	ds_load_b32 v7, v8 offset:512
	v_add_co_u32 v4, s0, s2, v4
	s_delay_alu instid0(VALU_DEP_1) | instskip(NEXT) | instid1(VALU_DEP_2)
	v_add_co_ci_u32_e64 v5, null, s3, 0, s0
	v_add_co_u32 v4, vcc_lo, v4, v6
	s_delay_alu instid0(VALU_DEP_2)
	v_add_co_ci_u32_e32 v5, vcc_lo, 0, v5, vcc_lo
	s_waitcnt lgkmcnt(2)
	s_clause 0x1
	global_store_b32 v[4:5], v0, off
	global_store_b32 v[4:5], v1, off offset:128
	s_waitcnt lgkmcnt(1)
	s_clause 0x1
	global_store_b32 v[4:5], v2, off offset:256
	global_store_b32 v[4:5], v3, off offset:384
	s_waitcnt lgkmcnt(0)
	global_store_b32 v[4:5], v7, off offset:512
	s_nop 0
	s_sendmsg sendmsg(MSG_DEALLOC_VGPRS)
	s_endpgm
	.section	.rodata,"a",@progbits
	.p2align	6, 0x0
	.amdhsa_kernel _Z17warp_store_kernelILj1024ELj5ELj32ELN7rocprim17ROCPRIM_304000_NS17warp_store_methodE3EiEvPT3_S4_
		.amdhsa_group_segment_fixed_size 20480
		.amdhsa_private_segment_fixed_size 0
		.amdhsa_kernarg_size 16
		.amdhsa_user_sgpr_count 15
		.amdhsa_user_sgpr_dispatch_ptr 0
		.amdhsa_user_sgpr_queue_ptr 0
		.amdhsa_user_sgpr_kernarg_segment_ptr 1
		.amdhsa_user_sgpr_dispatch_id 0
		.amdhsa_user_sgpr_private_segment_size 0
		.amdhsa_wavefront_size32 1
		.amdhsa_uses_dynamic_stack 0
		.amdhsa_enable_private_segment 0
		.amdhsa_system_sgpr_workgroup_id_x 1
		.amdhsa_system_sgpr_workgroup_id_y 0
		.amdhsa_system_sgpr_workgroup_id_z 0
		.amdhsa_system_sgpr_workgroup_info 0
		.amdhsa_system_vgpr_workitem_id 0
		.amdhsa_next_free_vgpr 10
		.amdhsa_next_free_sgpr 4
		.amdhsa_reserve_vcc 1
		.amdhsa_float_round_mode_32 0
		.amdhsa_float_round_mode_16_64 0
		.amdhsa_float_denorm_mode_32 3
		.amdhsa_float_denorm_mode_16_64 3
		.amdhsa_dx10_clamp 1
		.amdhsa_ieee_mode 1
		.amdhsa_fp16_overflow 0
		.amdhsa_workgroup_processor_mode 1
		.amdhsa_memory_ordered 1
		.amdhsa_forward_progress 0
		.amdhsa_shared_vgpr_count 0
		.amdhsa_exception_fp_ieee_invalid_op 0
		.amdhsa_exception_fp_denorm_src 0
		.amdhsa_exception_fp_ieee_div_zero 0
		.amdhsa_exception_fp_ieee_overflow 0
		.amdhsa_exception_fp_ieee_underflow 0
		.amdhsa_exception_fp_ieee_inexact 0
		.amdhsa_exception_int_div_zero 0
	.end_amdhsa_kernel
	.section	.text._Z17warp_store_kernelILj1024ELj5ELj32ELN7rocprim17ROCPRIM_304000_NS17warp_store_methodE3EiEvPT3_S4_,"axG",@progbits,_Z17warp_store_kernelILj1024ELj5ELj32ELN7rocprim17ROCPRIM_304000_NS17warp_store_methodE3EiEvPT3_S4_,comdat
.Lfunc_end28:
	.size	_Z17warp_store_kernelILj1024ELj5ELj32ELN7rocprim17ROCPRIM_304000_NS17warp_store_methodE3EiEvPT3_S4_, .Lfunc_end28-_Z17warp_store_kernelILj1024ELj5ELj32ELN7rocprim17ROCPRIM_304000_NS17warp_store_methodE3EiEvPT3_S4_
                                        ; -- End function
	.section	.AMDGPU.csdata,"",@progbits
; Kernel info:
; codeLenInByte = 268
; NumSgprs: 6
; NumVgprs: 10
; ScratchSize: 0
; MemoryBound: 0
; FloatMode: 240
; IeeeMode: 1
; LDSByteSize: 20480 bytes/workgroup (compile time only)
; SGPRBlocks: 0
; VGPRBlocks: 1
; NumSGPRsForWavesPerEU: 6
; NumVGPRsForWavesPerEU: 10
; Occupancy: 16
; WaveLimiterHint : 1
; COMPUTE_PGM_RSRC2:SCRATCH_EN: 0
; COMPUTE_PGM_RSRC2:USER_SGPR: 15
; COMPUTE_PGM_RSRC2:TRAP_HANDLER: 0
; COMPUTE_PGM_RSRC2:TGID_X_EN: 1
; COMPUTE_PGM_RSRC2:TGID_Y_EN: 0
; COMPUTE_PGM_RSRC2:TGID_Z_EN: 0
; COMPUTE_PGM_RSRC2:TIDIG_COMP_CNT: 0
	.section	.text._Z17warp_store_kernelILj1024ELj5ELj32ELN7rocprim17ROCPRIM_304000_NS17warp_store_methodE2EiEvPT3_S4_,"axG",@progbits,_Z17warp_store_kernelILj1024ELj5ELj32ELN7rocprim17ROCPRIM_304000_NS17warp_store_methodE2EiEvPT3_S4_,comdat
	.protected	_Z17warp_store_kernelILj1024ELj5ELj32ELN7rocprim17ROCPRIM_304000_NS17warp_store_methodE2EiEvPT3_S4_ ; -- Begin function _Z17warp_store_kernelILj1024ELj5ELj32ELN7rocprim17ROCPRIM_304000_NS17warp_store_methodE2EiEvPT3_S4_
	.globl	_Z17warp_store_kernelILj1024ELj5ELj32ELN7rocprim17ROCPRIM_304000_NS17warp_store_methodE2EiEvPT3_S4_
	.p2align	8
	.type	_Z17warp_store_kernelILj1024ELj5ELj32ELN7rocprim17ROCPRIM_304000_NS17warp_store_methodE2EiEvPT3_S4_,@function
_Z17warp_store_kernelILj1024ELj5ELj32ELN7rocprim17ROCPRIM_304000_NS17warp_store_methodE2EiEvPT3_S4_: ; @_Z17warp_store_kernelILj1024ELj5ELj32ELN7rocprim17ROCPRIM_304000_NS17warp_store_methodE2EiEvPT3_S4_
; %bb.0:
	s_load_b128 s[0:3], s[0:1], 0x0
	v_mul_u32_u24_e32 v1, 5, v0
	v_lshrrev_b32_e32 v0, 5, v0
	s_delay_alu instid0(VALU_DEP_2) | instskip(NEXT) | instid1(VALU_DEP_2)
	v_lshlrev_b32_e32 v5, 2, v1
	v_mul_u32_u24_e32 v0, 0xa0, v0
	s_waitcnt lgkmcnt(0)
	s_clause 0x1
	global_load_b128 v[1:4], v5, s[0:1]
	global_load_b32 v7, v5, s[0:1] offset:16
	v_mbcnt_lo_u32_b32 v5, -1, 0
	v_lshlrev_b32_e32 v0, 2, v0
	s_delay_alu instid0(VALU_DEP_2) | instskip(NEXT) | instid1(VALU_DEP_2)
	v_mul_u32_u24_e32 v5, 20, v5
	v_add_co_u32 v0, s0, s2, v0
	s_delay_alu instid0(VALU_DEP_1) | instskip(NEXT) | instid1(VALU_DEP_2)
	v_add_co_ci_u32_e64 v6, null, s3, 0, s0
	v_add_co_u32 v5, vcc_lo, v0, v5
	s_delay_alu instid0(VALU_DEP_2)
	v_add_co_ci_u32_e32 v6, vcc_lo, 0, v6, vcc_lo
	s_waitcnt vmcnt(1)
	global_store_b128 v[5:6], v[1:4], off
	s_waitcnt vmcnt(0)
	global_store_b32 v[5:6], v7, off offset:16
	s_nop 0
	s_sendmsg sendmsg(MSG_DEALLOC_VGPRS)
	s_endpgm
	.section	.rodata,"a",@progbits
	.p2align	6, 0x0
	.amdhsa_kernel _Z17warp_store_kernelILj1024ELj5ELj32ELN7rocprim17ROCPRIM_304000_NS17warp_store_methodE2EiEvPT3_S4_
		.amdhsa_group_segment_fixed_size 0
		.amdhsa_private_segment_fixed_size 0
		.amdhsa_kernarg_size 16
		.amdhsa_user_sgpr_count 15
		.amdhsa_user_sgpr_dispatch_ptr 0
		.amdhsa_user_sgpr_queue_ptr 0
		.amdhsa_user_sgpr_kernarg_segment_ptr 1
		.amdhsa_user_sgpr_dispatch_id 0
		.amdhsa_user_sgpr_private_segment_size 0
		.amdhsa_wavefront_size32 1
		.amdhsa_uses_dynamic_stack 0
		.amdhsa_enable_private_segment 0
		.amdhsa_system_sgpr_workgroup_id_x 1
		.amdhsa_system_sgpr_workgroup_id_y 0
		.amdhsa_system_sgpr_workgroup_id_z 0
		.amdhsa_system_sgpr_workgroup_info 0
		.amdhsa_system_vgpr_workitem_id 0
		.amdhsa_next_free_vgpr 8
		.amdhsa_next_free_sgpr 4
		.amdhsa_reserve_vcc 1
		.amdhsa_float_round_mode_32 0
		.amdhsa_float_round_mode_16_64 0
		.amdhsa_float_denorm_mode_32 3
		.amdhsa_float_denorm_mode_16_64 3
		.amdhsa_dx10_clamp 1
		.amdhsa_ieee_mode 1
		.amdhsa_fp16_overflow 0
		.amdhsa_workgroup_processor_mode 1
		.amdhsa_memory_ordered 1
		.amdhsa_forward_progress 0
		.amdhsa_shared_vgpr_count 0
		.amdhsa_exception_fp_ieee_invalid_op 0
		.amdhsa_exception_fp_denorm_src 0
		.amdhsa_exception_fp_ieee_div_zero 0
		.amdhsa_exception_fp_ieee_overflow 0
		.amdhsa_exception_fp_ieee_underflow 0
		.amdhsa_exception_fp_ieee_inexact 0
		.amdhsa_exception_int_div_zero 0
	.end_amdhsa_kernel
	.section	.text._Z17warp_store_kernelILj1024ELj5ELj32ELN7rocprim17ROCPRIM_304000_NS17warp_store_methodE2EiEvPT3_S4_,"axG",@progbits,_Z17warp_store_kernelILj1024ELj5ELj32ELN7rocprim17ROCPRIM_304000_NS17warp_store_methodE2EiEvPT3_S4_,comdat
.Lfunc_end29:
	.size	_Z17warp_store_kernelILj1024ELj5ELj32ELN7rocprim17ROCPRIM_304000_NS17warp_store_methodE2EiEvPT3_S4_, .Lfunc_end29-_Z17warp_store_kernelILj1024ELj5ELj32ELN7rocprim17ROCPRIM_304000_NS17warp_store_methodE2EiEvPT3_S4_
                                        ; -- End function
	.section	.AMDGPU.csdata,"",@progbits
; Kernel info:
; codeLenInByte = 148
; NumSgprs: 6
; NumVgprs: 8
; ScratchSize: 0
; MemoryBound: 0
; FloatMode: 240
; IeeeMode: 1
; LDSByteSize: 0 bytes/workgroup (compile time only)
; SGPRBlocks: 0
; VGPRBlocks: 0
; NumSGPRsForWavesPerEU: 6
; NumVGPRsForWavesPerEU: 8
; Occupancy: 16
; WaveLimiterHint : 0
; COMPUTE_PGM_RSRC2:SCRATCH_EN: 0
; COMPUTE_PGM_RSRC2:USER_SGPR: 15
; COMPUTE_PGM_RSRC2:TRAP_HANDLER: 0
; COMPUTE_PGM_RSRC2:TGID_X_EN: 1
; COMPUTE_PGM_RSRC2:TGID_Y_EN: 0
; COMPUTE_PGM_RSRC2:TGID_Z_EN: 0
; COMPUTE_PGM_RSRC2:TIDIG_COMP_CNT: 0
	.section	.text._Z17warp_store_kernelILj1024ELj5ELj32ELN7rocprim17ROCPRIM_304000_NS17warp_store_methodE1EiEvPT3_S4_,"axG",@progbits,_Z17warp_store_kernelILj1024ELj5ELj32ELN7rocprim17ROCPRIM_304000_NS17warp_store_methodE1EiEvPT3_S4_,comdat
	.protected	_Z17warp_store_kernelILj1024ELj5ELj32ELN7rocprim17ROCPRIM_304000_NS17warp_store_methodE1EiEvPT3_S4_ ; -- Begin function _Z17warp_store_kernelILj1024ELj5ELj32ELN7rocprim17ROCPRIM_304000_NS17warp_store_methodE1EiEvPT3_S4_
	.globl	_Z17warp_store_kernelILj1024ELj5ELj32ELN7rocprim17ROCPRIM_304000_NS17warp_store_methodE1EiEvPT3_S4_
	.p2align	8
	.type	_Z17warp_store_kernelILj1024ELj5ELj32ELN7rocprim17ROCPRIM_304000_NS17warp_store_methodE1EiEvPT3_S4_,@function
_Z17warp_store_kernelILj1024ELj5ELj32ELN7rocprim17ROCPRIM_304000_NS17warp_store_methodE1EiEvPT3_S4_: ; @_Z17warp_store_kernelILj1024ELj5ELj32ELN7rocprim17ROCPRIM_304000_NS17warp_store_methodE1EiEvPT3_S4_
; %bb.0:
	s_load_b128 s[0:3], s[0:1], 0x0
	v_mul_u32_u24_e32 v1, 5, v0
	v_lshrrev_b32_e32 v0, 5, v0
	s_delay_alu instid0(VALU_DEP_2) | instskip(NEXT) | instid1(VALU_DEP_2)
	v_lshlrev_b32_e32 v5, 2, v1
	v_mul_u32_u24_e32 v0, 0xa0, v0
	s_waitcnt lgkmcnt(0)
	s_clause 0x1
	global_load_b128 v[1:4], v5, s[0:1]
	global_load_b32 v7, v5, s[0:1] offset:16
	v_mbcnt_lo_u32_b32 v5, -1, 0
	v_lshlrev_b32_e32 v0, 2, v0
	s_delay_alu instid0(VALU_DEP_2) | instskip(NEXT) | instid1(VALU_DEP_2)
	v_lshlrev_b32_e32 v5, 2, v5
	v_add_co_u32 v0, s0, s2, v0
	s_delay_alu instid0(VALU_DEP_1) | instskip(NEXT) | instid1(VALU_DEP_2)
	v_add_co_ci_u32_e64 v6, null, s3, 0, s0
	v_add_co_u32 v5, vcc_lo, v0, v5
	s_delay_alu instid0(VALU_DEP_2)
	v_add_co_ci_u32_e32 v6, vcc_lo, 0, v6, vcc_lo
	s_waitcnt vmcnt(1)
	s_clause 0x3
	global_store_b32 v[5:6], v1, off
	global_store_b32 v[5:6], v2, off offset:128
	global_store_b32 v[5:6], v3, off offset:256
	;; [unrolled: 1-line block ×3, first 2 shown]
	s_waitcnt vmcnt(0)
	global_store_b32 v[5:6], v7, off offset:512
	s_nop 0
	s_sendmsg sendmsg(MSG_DEALLOC_VGPRS)
	s_endpgm
	.section	.rodata,"a",@progbits
	.p2align	6, 0x0
	.amdhsa_kernel _Z17warp_store_kernelILj1024ELj5ELj32ELN7rocprim17ROCPRIM_304000_NS17warp_store_methodE1EiEvPT3_S4_
		.amdhsa_group_segment_fixed_size 0
		.amdhsa_private_segment_fixed_size 0
		.amdhsa_kernarg_size 16
		.amdhsa_user_sgpr_count 15
		.amdhsa_user_sgpr_dispatch_ptr 0
		.amdhsa_user_sgpr_queue_ptr 0
		.amdhsa_user_sgpr_kernarg_segment_ptr 1
		.amdhsa_user_sgpr_dispatch_id 0
		.amdhsa_user_sgpr_private_segment_size 0
		.amdhsa_wavefront_size32 1
		.amdhsa_uses_dynamic_stack 0
		.amdhsa_enable_private_segment 0
		.amdhsa_system_sgpr_workgroup_id_x 1
		.amdhsa_system_sgpr_workgroup_id_y 0
		.amdhsa_system_sgpr_workgroup_id_z 0
		.amdhsa_system_sgpr_workgroup_info 0
		.amdhsa_system_vgpr_workitem_id 0
		.amdhsa_next_free_vgpr 8
		.amdhsa_next_free_sgpr 4
		.amdhsa_reserve_vcc 1
		.amdhsa_float_round_mode_32 0
		.amdhsa_float_round_mode_16_64 0
		.amdhsa_float_denorm_mode_32 3
		.amdhsa_float_denorm_mode_16_64 3
		.amdhsa_dx10_clamp 1
		.amdhsa_ieee_mode 1
		.amdhsa_fp16_overflow 0
		.amdhsa_workgroup_processor_mode 1
		.amdhsa_memory_ordered 1
		.amdhsa_forward_progress 0
		.amdhsa_shared_vgpr_count 0
		.amdhsa_exception_fp_ieee_invalid_op 0
		.amdhsa_exception_fp_denorm_src 0
		.amdhsa_exception_fp_ieee_div_zero 0
		.amdhsa_exception_fp_ieee_overflow 0
		.amdhsa_exception_fp_ieee_underflow 0
		.amdhsa_exception_fp_ieee_inexact 0
		.amdhsa_exception_int_div_zero 0
	.end_amdhsa_kernel
	.section	.text._Z17warp_store_kernelILj1024ELj5ELj32ELN7rocprim17ROCPRIM_304000_NS17warp_store_methodE1EiEvPT3_S4_,"axG",@progbits,_Z17warp_store_kernelILj1024ELj5ELj32ELN7rocprim17ROCPRIM_304000_NS17warp_store_methodE1EiEvPT3_S4_,comdat
.Lfunc_end30:
	.size	_Z17warp_store_kernelILj1024ELj5ELj32ELN7rocprim17ROCPRIM_304000_NS17warp_store_methodE1EiEvPT3_S4_, .Lfunc_end30-_Z17warp_store_kernelILj1024ELj5ELj32ELN7rocprim17ROCPRIM_304000_NS17warp_store_methodE1EiEvPT3_S4_
                                        ; -- End function
	.section	.AMDGPU.csdata,"",@progbits
; Kernel info:
; codeLenInByte = 176
; NumSgprs: 6
; NumVgprs: 8
; ScratchSize: 0
; MemoryBound: 0
; FloatMode: 240
; IeeeMode: 1
; LDSByteSize: 0 bytes/workgroup (compile time only)
; SGPRBlocks: 0
; VGPRBlocks: 0
; NumSGPRsForWavesPerEU: 6
; NumVGPRsForWavesPerEU: 8
; Occupancy: 16
; WaveLimiterHint : 1
; COMPUTE_PGM_RSRC2:SCRATCH_EN: 0
; COMPUTE_PGM_RSRC2:USER_SGPR: 15
; COMPUTE_PGM_RSRC2:TRAP_HANDLER: 0
; COMPUTE_PGM_RSRC2:TGID_X_EN: 1
; COMPUTE_PGM_RSRC2:TGID_Y_EN: 0
; COMPUTE_PGM_RSRC2:TGID_Z_EN: 0
; COMPUTE_PGM_RSRC2:TIDIG_COMP_CNT: 0
	.section	.text._Z17warp_store_kernelILj1024ELj5ELj32ELN7rocprim17ROCPRIM_304000_NS17warp_store_methodE0EiEvPT3_S4_,"axG",@progbits,_Z17warp_store_kernelILj1024ELj5ELj32ELN7rocprim17ROCPRIM_304000_NS17warp_store_methodE0EiEvPT3_S4_,comdat
	.protected	_Z17warp_store_kernelILj1024ELj5ELj32ELN7rocprim17ROCPRIM_304000_NS17warp_store_methodE0EiEvPT3_S4_ ; -- Begin function _Z17warp_store_kernelILj1024ELj5ELj32ELN7rocprim17ROCPRIM_304000_NS17warp_store_methodE0EiEvPT3_S4_
	.globl	_Z17warp_store_kernelILj1024ELj5ELj32ELN7rocprim17ROCPRIM_304000_NS17warp_store_methodE0EiEvPT3_S4_
	.p2align	8
	.type	_Z17warp_store_kernelILj1024ELj5ELj32ELN7rocprim17ROCPRIM_304000_NS17warp_store_methodE0EiEvPT3_S4_,@function
_Z17warp_store_kernelILj1024ELj5ELj32ELN7rocprim17ROCPRIM_304000_NS17warp_store_methodE0EiEvPT3_S4_: ; @_Z17warp_store_kernelILj1024ELj5ELj32ELN7rocprim17ROCPRIM_304000_NS17warp_store_methodE0EiEvPT3_S4_
; %bb.0:
	s_load_b128 s[0:3], s[0:1], 0x0
	v_mul_u32_u24_e32 v1, 5, v0
	v_lshrrev_b32_e32 v0, 5, v0
	s_delay_alu instid0(VALU_DEP_2) | instskip(NEXT) | instid1(VALU_DEP_2)
	v_lshlrev_b32_e32 v5, 2, v1
	v_mul_u32_u24_e32 v0, 0xa0, v0
	s_waitcnt lgkmcnt(0)
	s_clause 0x1
	global_load_b128 v[1:4], v5, s[0:1]
	global_load_b32 v7, v5, s[0:1] offset:16
	v_mbcnt_lo_u32_b32 v5, -1, 0
	v_lshlrev_b32_e32 v0, 2, v0
	s_delay_alu instid0(VALU_DEP_2) | instskip(NEXT) | instid1(VALU_DEP_2)
	v_mul_u32_u24_e32 v5, 20, v5
	v_add_co_u32 v0, s0, s2, v0
	s_delay_alu instid0(VALU_DEP_1) | instskip(NEXT) | instid1(VALU_DEP_2)
	v_add_co_ci_u32_e64 v6, null, s3, 0, s0
	v_add_co_u32 v5, vcc_lo, v0, v5
	s_delay_alu instid0(VALU_DEP_2)
	v_add_co_ci_u32_e32 v6, vcc_lo, 0, v6, vcc_lo
	s_waitcnt vmcnt(1)
	global_store_b128 v[5:6], v[1:4], off
	s_waitcnt vmcnt(0)
	global_store_b32 v[5:6], v7, off offset:16
	s_nop 0
	s_sendmsg sendmsg(MSG_DEALLOC_VGPRS)
	s_endpgm
	.section	.rodata,"a",@progbits
	.p2align	6, 0x0
	.amdhsa_kernel _Z17warp_store_kernelILj1024ELj5ELj32ELN7rocprim17ROCPRIM_304000_NS17warp_store_methodE0EiEvPT3_S4_
		.amdhsa_group_segment_fixed_size 0
		.amdhsa_private_segment_fixed_size 0
		.amdhsa_kernarg_size 16
		.amdhsa_user_sgpr_count 15
		.amdhsa_user_sgpr_dispatch_ptr 0
		.amdhsa_user_sgpr_queue_ptr 0
		.amdhsa_user_sgpr_kernarg_segment_ptr 1
		.amdhsa_user_sgpr_dispatch_id 0
		.amdhsa_user_sgpr_private_segment_size 0
		.amdhsa_wavefront_size32 1
		.amdhsa_uses_dynamic_stack 0
		.amdhsa_enable_private_segment 0
		.amdhsa_system_sgpr_workgroup_id_x 1
		.amdhsa_system_sgpr_workgroup_id_y 0
		.amdhsa_system_sgpr_workgroup_id_z 0
		.amdhsa_system_sgpr_workgroup_info 0
		.amdhsa_system_vgpr_workitem_id 0
		.amdhsa_next_free_vgpr 8
		.amdhsa_next_free_sgpr 4
		.amdhsa_reserve_vcc 1
		.amdhsa_float_round_mode_32 0
		.amdhsa_float_round_mode_16_64 0
		.amdhsa_float_denorm_mode_32 3
		.amdhsa_float_denorm_mode_16_64 3
		.amdhsa_dx10_clamp 1
		.amdhsa_ieee_mode 1
		.amdhsa_fp16_overflow 0
		.amdhsa_workgroup_processor_mode 1
		.amdhsa_memory_ordered 1
		.amdhsa_forward_progress 0
		.amdhsa_shared_vgpr_count 0
		.amdhsa_exception_fp_ieee_invalid_op 0
		.amdhsa_exception_fp_denorm_src 0
		.amdhsa_exception_fp_ieee_div_zero 0
		.amdhsa_exception_fp_ieee_overflow 0
		.amdhsa_exception_fp_ieee_underflow 0
		.amdhsa_exception_fp_ieee_inexact 0
		.amdhsa_exception_int_div_zero 0
	.end_amdhsa_kernel
	.section	.text._Z17warp_store_kernelILj1024ELj5ELj32ELN7rocprim17ROCPRIM_304000_NS17warp_store_methodE0EiEvPT3_S4_,"axG",@progbits,_Z17warp_store_kernelILj1024ELj5ELj32ELN7rocprim17ROCPRIM_304000_NS17warp_store_methodE0EiEvPT3_S4_,comdat
.Lfunc_end31:
	.size	_Z17warp_store_kernelILj1024ELj5ELj32ELN7rocprim17ROCPRIM_304000_NS17warp_store_methodE0EiEvPT3_S4_, .Lfunc_end31-_Z17warp_store_kernelILj1024ELj5ELj32ELN7rocprim17ROCPRIM_304000_NS17warp_store_methodE0EiEvPT3_S4_
                                        ; -- End function
	.section	.AMDGPU.csdata,"",@progbits
; Kernel info:
; codeLenInByte = 148
; NumSgprs: 6
; NumVgprs: 8
; ScratchSize: 0
; MemoryBound: 0
; FloatMode: 240
; IeeeMode: 1
; LDSByteSize: 0 bytes/workgroup (compile time only)
; SGPRBlocks: 0
; VGPRBlocks: 0
; NumSGPRsForWavesPerEU: 6
; NumVGPRsForWavesPerEU: 8
; Occupancy: 16
; WaveLimiterHint : 0
; COMPUTE_PGM_RSRC2:SCRATCH_EN: 0
; COMPUTE_PGM_RSRC2:USER_SGPR: 15
; COMPUTE_PGM_RSRC2:TRAP_HANDLER: 0
; COMPUTE_PGM_RSRC2:TGID_X_EN: 1
; COMPUTE_PGM_RSRC2:TGID_Y_EN: 0
; COMPUTE_PGM_RSRC2:TGID_Z_EN: 0
; COMPUTE_PGM_RSRC2:TIDIG_COMP_CNT: 0
	.section	.text._Z17warp_store_kernelILj1024ELj4ELj32ELN7rocprim17ROCPRIM_304000_NS17warp_store_methodE3EiEvPT3_S4_,"axG",@progbits,_Z17warp_store_kernelILj1024ELj4ELj32ELN7rocprim17ROCPRIM_304000_NS17warp_store_methodE3EiEvPT3_S4_,comdat
	.protected	_Z17warp_store_kernelILj1024ELj4ELj32ELN7rocprim17ROCPRIM_304000_NS17warp_store_methodE3EiEvPT3_S4_ ; -- Begin function _Z17warp_store_kernelILj1024ELj4ELj32ELN7rocprim17ROCPRIM_304000_NS17warp_store_methodE3EiEvPT3_S4_
	.globl	_Z17warp_store_kernelILj1024ELj4ELj32ELN7rocprim17ROCPRIM_304000_NS17warp_store_methodE3EiEvPT3_S4_
	.p2align	8
	.type	_Z17warp_store_kernelILj1024ELj4ELj32ELN7rocprim17ROCPRIM_304000_NS17warp_store_methodE3EiEvPT3_S4_,@function
_Z17warp_store_kernelILj1024ELj4ELj32ELN7rocprim17ROCPRIM_304000_NS17warp_store_methodE3EiEvPT3_S4_: ; @_Z17warp_store_kernelILj1024ELj4ELj32ELN7rocprim17ROCPRIM_304000_NS17warp_store_methodE3EiEvPT3_S4_
; %bb.0:
	s_load_b128 s[0:3], s[0:1], 0x0
	v_lshlrev_b32_e32 v4, 4, v0
	v_mbcnt_lo_u32_b32 v5, -1, 0
	s_delay_alu instid0(VALU_DEP_1) | instskip(SKIP_3) | instid1(VALU_DEP_1)
	v_lshlrev_b32_e32 v6, 2, v5
	s_waitcnt lgkmcnt(0)
	global_load_b128 v[0:3], v4, s[0:1]
	v_and_b32_e32 v4, 0x3e00, v4
	v_lshl_or_b32 v5, v5, 4, v4
	v_or_b32_e32 v7, v4, v6
	v_add_co_u32 v4, s0, s2, v4
	s_delay_alu instid0(VALU_DEP_1)
	v_add_co_u32 v4, vcc_lo, v4, v6
	s_waitcnt vmcnt(0)
	ds_store_b128 v5, v[0:3]
	; wave barrier
	ds_load_2addr_b32 v[0:1], v7 offset1:32
	ds_load_2addr_b32 v[2:3], v7 offset0:64 offset1:96
	v_add_co_ci_u32_e64 v5, null, s3, 0, s0
	s_delay_alu instid0(VALU_DEP_1)
	v_add_co_ci_u32_e32 v5, vcc_lo, 0, v5, vcc_lo
	s_waitcnt lgkmcnt(1)
	s_clause 0x1
	global_store_b32 v[4:5], v0, off
	global_store_b32 v[4:5], v1, off offset:128
	s_waitcnt lgkmcnt(0)
	s_clause 0x1
	global_store_b32 v[4:5], v2, off offset:256
	global_store_b32 v[4:5], v3, off offset:384
	s_nop 0
	s_sendmsg sendmsg(MSG_DEALLOC_VGPRS)
	s_endpgm
	.section	.rodata,"a",@progbits
	.p2align	6, 0x0
	.amdhsa_kernel _Z17warp_store_kernelILj1024ELj4ELj32ELN7rocprim17ROCPRIM_304000_NS17warp_store_methodE3EiEvPT3_S4_
		.amdhsa_group_segment_fixed_size 16384
		.amdhsa_private_segment_fixed_size 0
		.amdhsa_kernarg_size 16
		.amdhsa_user_sgpr_count 15
		.amdhsa_user_sgpr_dispatch_ptr 0
		.amdhsa_user_sgpr_queue_ptr 0
		.amdhsa_user_sgpr_kernarg_segment_ptr 1
		.amdhsa_user_sgpr_dispatch_id 0
		.amdhsa_user_sgpr_private_segment_size 0
		.amdhsa_wavefront_size32 1
		.amdhsa_uses_dynamic_stack 0
		.amdhsa_enable_private_segment 0
		.amdhsa_system_sgpr_workgroup_id_x 1
		.amdhsa_system_sgpr_workgroup_id_y 0
		.amdhsa_system_sgpr_workgroup_id_z 0
		.amdhsa_system_sgpr_workgroup_info 0
		.amdhsa_system_vgpr_workitem_id 0
		.amdhsa_next_free_vgpr 8
		.amdhsa_next_free_sgpr 4
		.amdhsa_reserve_vcc 1
		.amdhsa_float_round_mode_32 0
		.amdhsa_float_round_mode_16_64 0
		.amdhsa_float_denorm_mode_32 3
		.amdhsa_float_denorm_mode_16_64 3
		.amdhsa_dx10_clamp 1
		.amdhsa_ieee_mode 1
		.amdhsa_fp16_overflow 0
		.amdhsa_workgroup_processor_mode 1
		.amdhsa_memory_ordered 1
		.amdhsa_forward_progress 0
		.amdhsa_shared_vgpr_count 0
		.amdhsa_exception_fp_ieee_invalid_op 0
		.amdhsa_exception_fp_denorm_src 0
		.amdhsa_exception_fp_ieee_div_zero 0
		.amdhsa_exception_fp_ieee_overflow 0
		.amdhsa_exception_fp_ieee_underflow 0
		.amdhsa_exception_fp_ieee_inexact 0
		.amdhsa_exception_int_div_zero 0
	.end_amdhsa_kernel
	.section	.text._Z17warp_store_kernelILj1024ELj4ELj32ELN7rocprim17ROCPRIM_304000_NS17warp_store_methodE3EiEvPT3_S4_,"axG",@progbits,_Z17warp_store_kernelILj1024ELj4ELj32ELN7rocprim17ROCPRIM_304000_NS17warp_store_methodE3EiEvPT3_S4_,comdat
.Lfunc_end32:
	.size	_Z17warp_store_kernelILj1024ELj4ELj32ELN7rocprim17ROCPRIM_304000_NS17warp_store_methodE3EiEvPT3_S4_, .Lfunc_end32-_Z17warp_store_kernelILj1024ELj4ELj32ELN7rocprim17ROCPRIM_304000_NS17warp_store_methodE3EiEvPT3_S4_
                                        ; -- End function
	.section	.AMDGPU.csdata,"",@progbits
; Kernel info:
; codeLenInByte = 184
; NumSgprs: 6
; NumVgprs: 8
; ScratchSize: 0
; MemoryBound: 0
; FloatMode: 240
; IeeeMode: 1
; LDSByteSize: 16384 bytes/workgroup (compile time only)
; SGPRBlocks: 0
; VGPRBlocks: 0
; NumSGPRsForWavesPerEU: 6
; NumVGPRsForWavesPerEU: 8
; Occupancy: 16
; WaveLimiterHint : 1
; COMPUTE_PGM_RSRC2:SCRATCH_EN: 0
; COMPUTE_PGM_RSRC2:USER_SGPR: 15
; COMPUTE_PGM_RSRC2:TRAP_HANDLER: 0
; COMPUTE_PGM_RSRC2:TGID_X_EN: 1
; COMPUTE_PGM_RSRC2:TGID_Y_EN: 0
; COMPUTE_PGM_RSRC2:TGID_Z_EN: 0
; COMPUTE_PGM_RSRC2:TIDIG_COMP_CNT: 0
	.section	.text._Z17warp_store_kernelILj1024ELj4ELj32ELN7rocprim17ROCPRIM_304000_NS17warp_store_methodE2EiEvPT3_S4_,"axG",@progbits,_Z17warp_store_kernelILj1024ELj4ELj32ELN7rocprim17ROCPRIM_304000_NS17warp_store_methodE2EiEvPT3_S4_,comdat
	.protected	_Z17warp_store_kernelILj1024ELj4ELj32ELN7rocprim17ROCPRIM_304000_NS17warp_store_methodE2EiEvPT3_S4_ ; -- Begin function _Z17warp_store_kernelILj1024ELj4ELj32ELN7rocprim17ROCPRIM_304000_NS17warp_store_methodE2EiEvPT3_S4_
	.globl	_Z17warp_store_kernelILj1024ELj4ELj32ELN7rocprim17ROCPRIM_304000_NS17warp_store_methodE2EiEvPT3_S4_
	.p2align	8
	.type	_Z17warp_store_kernelILj1024ELj4ELj32ELN7rocprim17ROCPRIM_304000_NS17warp_store_methodE2EiEvPT3_S4_,@function
_Z17warp_store_kernelILj1024ELj4ELj32ELN7rocprim17ROCPRIM_304000_NS17warp_store_methodE2EiEvPT3_S4_: ; @_Z17warp_store_kernelILj1024ELj4ELj32ELN7rocprim17ROCPRIM_304000_NS17warp_store_methodE2EiEvPT3_S4_
; %bb.0:
	s_load_b128 s[0:3], s[0:1], 0x0
	v_lshlrev_b32_e32 v4, 4, v0
	v_mbcnt_lo_u32_b32 v5, -1, 0
	s_delay_alu instid0(VALU_DEP_1) | instskip(SKIP_3) | instid1(VALU_DEP_1)
	v_lshlrev_b32_e32 v5, 4, v5
	s_waitcnt lgkmcnt(0)
	global_load_b128 v[0:3], v4, s[0:1]
	v_and_b32_e32 v4, 0x3e00, v4
	v_add_co_u32 v4, s0, s2, v4
	s_delay_alu instid0(VALU_DEP_1) | instskip(NEXT) | instid1(VALU_DEP_2)
	v_add_co_ci_u32_e64 v6, null, s3, 0, s0
	v_add_co_u32 v4, vcc_lo, v4, v5
	s_delay_alu instid0(VALU_DEP_2)
	v_add_co_ci_u32_e32 v5, vcc_lo, 0, v6, vcc_lo
	s_waitcnt vmcnt(0)
	global_store_b128 v[4:5], v[0:3], off
	s_nop 0
	s_sendmsg sendmsg(MSG_DEALLOC_VGPRS)
	s_endpgm
	.section	.rodata,"a",@progbits
	.p2align	6, 0x0
	.amdhsa_kernel _Z17warp_store_kernelILj1024ELj4ELj32ELN7rocprim17ROCPRIM_304000_NS17warp_store_methodE2EiEvPT3_S4_
		.amdhsa_group_segment_fixed_size 0
		.amdhsa_private_segment_fixed_size 0
		.amdhsa_kernarg_size 16
		.amdhsa_user_sgpr_count 15
		.amdhsa_user_sgpr_dispatch_ptr 0
		.amdhsa_user_sgpr_queue_ptr 0
		.amdhsa_user_sgpr_kernarg_segment_ptr 1
		.amdhsa_user_sgpr_dispatch_id 0
		.amdhsa_user_sgpr_private_segment_size 0
		.amdhsa_wavefront_size32 1
		.amdhsa_uses_dynamic_stack 0
		.amdhsa_enable_private_segment 0
		.amdhsa_system_sgpr_workgroup_id_x 1
		.amdhsa_system_sgpr_workgroup_id_y 0
		.amdhsa_system_sgpr_workgroup_id_z 0
		.amdhsa_system_sgpr_workgroup_info 0
		.amdhsa_system_vgpr_workitem_id 0
		.amdhsa_next_free_vgpr 7
		.amdhsa_next_free_sgpr 4
		.amdhsa_reserve_vcc 1
		.amdhsa_float_round_mode_32 0
		.amdhsa_float_round_mode_16_64 0
		.amdhsa_float_denorm_mode_32 3
		.amdhsa_float_denorm_mode_16_64 3
		.amdhsa_dx10_clamp 1
		.amdhsa_ieee_mode 1
		.amdhsa_fp16_overflow 0
		.amdhsa_workgroup_processor_mode 1
		.amdhsa_memory_ordered 1
		.amdhsa_forward_progress 0
		.amdhsa_shared_vgpr_count 0
		.amdhsa_exception_fp_ieee_invalid_op 0
		.amdhsa_exception_fp_denorm_src 0
		.amdhsa_exception_fp_ieee_div_zero 0
		.amdhsa_exception_fp_ieee_overflow 0
		.amdhsa_exception_fp_ieee_underflow 0
		.amdhsa_exception_fp_ieee_inexact 0
		.amdhsa_exception_int_div_zero 0
	.end_amdhsa_kernel
	.section	.text._Z17warp_store_kernelILj1024ELj4ELj32ELN7rocprim17ROCPRIM_304000_NS17warp_store_methodE2EiEvPT3_S4_,"axG",@progbits,_Z17warp_store_kernelILj1024ELj4ELj32ELN7rocprim17ROCPRIM_304000_NS17warp_store_methodE2EiEvPT3_S4_,comdat
.Lfunc_end33:
	.size	_Z17warp_store_kernelILj1024ELj4ELj32ELN7rocprim17ROCPRIM_304000_NS17warp_store_methodE2EiEvPT3_S4_, .Lfunc_end33-_Z17warp_store_kernelILj1024ELj4ELj32ELN7rocprim17ROCPRIM_304000_NS17warp_store_methodE2EiEvPT3_S4_
                                        ; -- End function
	.section	.AMDGPU.csdata,"",@progbits
; Kernel info:
; codeLenInByte = 108
; NumSgprs: 6
; NumVgprs: 7
; ScratchSize: 0
; MemoryBound: 0
; FloatMode: 240
; IeeeMode: 1
; LDSByteSize: 0 bytes/workgroup (compile time only)
; SGPRBlocks: 0
; VGPRBlocks: 0
; NumSGPRsForWavesPerEU: 6
; NumVGPRsForWavesPerEU: 7
; Occupancy: 16
; WaveLimiterHint : 0
; COMPUTE_PGM_RSRC2:SCRATCH_EN: 0
; COMPUTE_PGM_RSRC2:USER_SGPR: 15
; COMPUTE_PGM_RSRC2:TRAP_HANDLER: 0
; COMPUTE_PGM_RSRC2:TGID_X_EN: 1
; COMPUTE_PGM_RSRC2:TGID_Y_EN: 0
; COMPUTE_PGM_RSRC2:TGID_Z_EN: 0
; COMPUTE_PGM_RSRC2:TIDIG_COMP_CNT: 0
	.section	.text._Z17warp_store_kernelILj1024ELj4ELj32ELN7rocprim17ROCPRIM_304000_NS17warp_store_methodE1EiEvPT3_S4_,"axG",@progbits,_Z17warp_store_kernelILj1024ELj4ELj32ELN7rocprim17ROCPRIM_304000_NS17warp_store_methodE1EiEvPT3_S4_,comdat
	.protected	_Z17warp_store_kernelILj1024ELj4ELj32ELN7rocprim17ROCPRIM_304000_NS17warp_store_methodE1EiEvPT3_S4_ ; -- Begin function _Z17warp_store_kernelILj1024ELj4ELj32ELN7rocprim17ROCPRIM_304000_NS17warp_store_methodE1EiEvPT3_S4_
	.globl	_Z17warp_store_kernelILj1024ELj4ELj32ELN7rocprim17ROCPRIM_304000_NS17warp_store_methodE1EiEvPT3_S4_
	.p2align	8
	.type	_Z17warp_store_kernelILj1024ELj4ELj32ELN7rocprim17ROCPRIM_304000_NS17warp_store_methodE1EiEvPT3_S4_,@function
_Z17warp_store_kernelILj1024ELj4ELj32ELN7rocprim17ROCPRIM_304000_NS17warp_store_methodE1EiEvPT3_S4_: ; @_Z17warp_store_kernelILj1024ELj4ELj32ELN7rocprim17ROCPRIM_304000_NS17warp_store_methodE1EiEvPT3_S4_
; %bb.0:
	s_load_b128 s[0:3], s[0:1], 0x0
	v_lshlrev_b32_e32 v4, 4, v0
	v_mbcnt_lo_u32_b32 v5, -1, 0
	s_delay_alu instid0(VALU_DEP_1) | instskip(SKIP_3) | instid1(VALU_DEP_1)
	v_lshlrev_b32_e32 v5, 2, v5
	s_waitcnt lgkmcnt(0)
	global_load_b128 v[0:3], v4, s[0:1]
	v_and_b32_e32 v4, 0x3e00, v4
	v_add_co_u32 v4, s0, s2, v4
	s_delay_alu instid0(VALU_DEP_1) | instskip(NEXT) | instid1(VALU_DEP_2)
	v_add_co_ci_u32_e64 v6, null, s3, 0, s0
	v_add_co_u32 v4, vcc_lo, v4, v5
	s_delay_alu instid0(VALU_DEP_2)
	v_add_co_ci_u32_e32 v5, vcc_lo, 0, v6, vcc_lo
	s_waitcnt vmcnt(0)
	s_clause 0x3
	global_store_b32 v[4:5], v0, off
	global_store_b32 v[4:5], v1, off offset:128
	global_store_b32 v[4:5], v2, off offset:256
	;; [unrolled: 1-line block ×3, first 2 shown]
	s_nop 0
	s_sendmsg sendmsg(MSG_DEALLOC_VGPRS)
	s_endpgm
	.section	.rodata,"a",@progbits
	.p2align	6, 0x0
	.amdhsa_kernel _Z17warp_store_kernelILj1024ELj4ELj32ELN7rocprim17ROCPRIM_304000_NS17warp_store_methodE1EiEvPT3_S4_
		.amdhsa_group_segment_fixed_size 0
		.amdhsa_private_segment_fixed_size 0
		.amdhsa_kernarg_size 16
		.amdhsa_user_sgpr_count 15
		.amdhsa_user_sgpr_dispatch_ptr 0
		.amdhsa_user_sgpr_queue_ptr 0
		.amdhsa_user_sgpr_kernarg_segment_ptr 1
		.amdhsa_user_sgpr_dispatch_id 0
		.amdhsa_user_sgpr_private_segment_size 0
		.amdhsa_wavefront_size32 1
		.amdhsa_uses_dynamic_stack 0
		.amdhsa_enable_private_segment 0
		.amdhsa_system_sgpr_workgroup_id_x 1
		.amdhsa_system_sgpr_workgroup_id_y 0
		.amdhsa_system_sgpr_workgroup_id_z 0
		.amdhsa_system_sgpr_workgroup_info 0
		.amdhsa_system_vgpr_workitem_id 0
		.amdhsa_next_free_vgpr 7
		.amdhsa_next_free_sgpr 4
		.amdhsa_reserve_vcc 1
		.amdhsa_float_round_mode_32 0
		.amdhsa_float_round_mode_16_64 0
		.amdhsa_float_denorm_mode_32 3
		.amdhsa_float_denorm_mode_16_64 3
		.amdhsa_dx10_clamp 1
		.amdhsa_ieee_mode 1
		.amdhsa_fp16_overflow 0
		.amdhsa_workgroup_processor_mode 1
		.amdhsa_memory_ordered 1
		.amdhsa_forward_progress 0
		.amdhsa_shared_vgpr_count 0
		.amdhsa_exception_fp_ieee_invalid_op 0
		.amdhsa_exception_fp_denorm_src 0
		.amdhsa_exception_fp_ieee_div_zero 0
		.amdhsa_exception_fp_ieee_overflow 0
		.amdhsa_exception_fp_ieee_underflow 0
		.amdhsa_exception_fp_ieee_inexact 0
		.amdhsa_exception_int_div_zero 0
	.end_amdhsa_kernel
	.section	.text._Z17warp_store_kernelILj1024ELj4ELj32ELN7rocprim17ROCPRIM_304000_NS17warp_store_methodE1EiEvPT3_S4_,"axG",@progbits,_Z17warp_store_kernelILj1024ELj4ELj32ELN7rocprim17ROCPRIM_304000_NS17warp_store_methodE1EiEvPT3_S4_,comdat
.Lfunc_end34:
	.size	_Z17warp_store_kernelILj1024ELj4ELj32ELN7rocprim17ROCPRIM_304000_NS17warp_store_methodE1EiEvPT3_S4_, .Lfunc_end34-_Z17warp_store_kernelILj1024ELj4ELj32ELN7rocprim17ROCPRIM_304000_NS17warp_store_methodE1EiEvPT3_S4_
                                        ; -- End function
	.section	.AMDGPU.csdata,"",@progbits
; Kernel info:
; codeLenInByte = 136
; NumSgprs: 6
; NumVgprs: 7
; ScratchSize: 0
; MemoryBound: 0
; FloatMode: 240
; IeeeMode: 1
; LDSByteSize: 0 bytes/workgroup (compile time only)
; SGPRBlocks: 0
; VGPRBlocks: 0
; NumSGPRsForWavesPerEU: 6
; NumVGPRsForWavesPerEU: 7
; Occupancy: 16
; WaveLimiterHint : 1
; COMPUTE_PGM_RSRC2:SCRATCH_EN: 0
; COMPUTE_PGM_RSRC2:USER_SGPR: 15
; COMPUTE_PGM_RSRC2:TRAP_HANDLER: 0
; COMPUTE_PGM_RSRC2:TGID_X_EN: 1
; COMPUTE_PGM_RSRC2:TGID_Y_EN: 0
; COMPUTE_PGM_RSRC2:TGID_Z_EN: 0
; COMPUTE_PGM_RSRC2:TIDIG_COMP_CNT: 0
	.section	.text._Z17warp_store_kernelILj1024ELj4ELj32ELN7rocprim17ROCPRIM_304000_NS17warp_store_methodE0EiEvPT3_S4_,"axG",@progbits,_Z17warp_store_kernelILj1024ELj4ELj32ELN7rocprim17ROCPRIM_304000_NS17warp_store_methodE0EiEvPT3_S4_,comdat
	.protected	_Z17warp_store_kernelILj1024ELj4ELj32ELN7rocprim17ROCPRIM_304000_NS17warp_store_methodE0EiEvPT3_S4_ ; -- Begin function _Z17warp_store_kernelILj1024ELj4ELj32ELN7rocprim17ROCPRIM_304000_NS17warp_store_methodE0EiEvPT3_S4_
	.globl	_Z17warp_store_kernelILj1024ELj4ELj32ELN7rocprim17ROCPRIM_304000_NS17warp_store_methodE0EiEvPT3_S4_
	.p2align	8
	.type	_Z17warp_store_kernelILj1024ELj4ELj32ELN7rocprim17ROCPRIM_304000_NS17warp_store_methodE0EiEvPT3_S4_,@function
_Z17warp_store_kernelILj1024ELj4ELj32ELN7rocprim17ROCPRIM_304000_NS17warp_store_methodE0EiEvPT3_S4_: ; @_Z17warp_store_kernelILj1024ELj4ELj32ELN7rocprim17ROCPRIM_304000_NS17warp_store_methodE0EiEvPT3_S4_
; %bb.0:
	s_load_b128 s[0:3], s[0:1], 0x0
	v_lshlrev_b32_e32 v4, 4, v0
	v_mbcnt_lo_u32_b32 v5, -1, 0
	s_delay_alu instid0(VALU_DEP_1) | instskip(SKIP_3) | instid1(VALU_DEP_1)
	v_lshlrev_b32_e32 v5, 4, v5
	s_waitcnt lgkmcnt(0)
	global_load_b128 v[0:3], v4, s[0:1]
	v_and_b32_e32 v4, 0x3e00, v4
	v_add_co_u32 v4, s0, s2, v4
	s_delay_alu instid0(VALU_DEP_1) | instskip(NEXT) | instid1(VALU_DEP_2)
	v_add_co_ci_u32_e64 v6, null, s3, 0, s0
	v_add_co_u32 v4, vcc_lo, v4, v5
	s_delay_alu instid0(VALU_DEP_2)
	v_add_co_ci_u32_e32 v5, vcc_lo, 0, v6, vcc_lo
	s_waitcnt vmcnt(0)
	global_store_b128 v[4:5], v[0:3], off
	s_nop 0
	s_sendmsg sendmsg(MSG_DEALLOC_VGPRS)
	s_endpgm
	.section	.rodata,"a",@progbits
	.p2align	6, 0x0
	.amdhsa_kernel _Z17warp_store_kernelILj1024ELj4ELj32ELN7rocprim17ROCPRIM_304000_NS17warp_store_methodE0EiEvPT3_S4_
		.amdhsa_group_segment_fixed_size 0
		.amdhsa_private_segment_fixed_size 0
		.amdhsa_kernarg_size 16
		.amdhsa_user_sgpr_count 15
		.amdhsa_user_sgpr_dispatch_ptr 0
		.amdhsa_user_sgpr_queue_ptr 0
		.amdhsa_user_sgpr_kernarg_segment_ptr 1
		.amdhsa_user_sgpr_dispatch_id 0
		.amdhsa_user_sgpr_private_segment_size 0
		.amdhsa_wavefront_size32 1
		.amdhsa_uses_dynamic_stack 0
		.amdhsa_enable_private_segment 0
		.amdhsa_system_sgpr_workgroup_id_x 1
		.amdhsa_system_sgpr_workgroup_id_y 0
		.amdhsa_system_sgpr_workgroup_id_z 0
		.amdhsa_system_sgpr_workgroup_info 0
		.amdhsa_system_vgpr_workitem_id 0
		.amdhsa_next_free_vgpr 7
		.amdhsa_next_free_sgpr 4
		.amdhsa_reserve_vcc 1
		.amdhsa_float_round_mode_32 0
		.amdhsa_float_round_mode_16_64 0
		.amdhsa_float_denorm_mode_32 3
		.amdhsa_float_denorm_mode_16_64 3
		.amdhsa_dx10_clamp 1
		.amdhsa_ieee_mode 1
		.amdhsa_fp16_overflow 0
		.amdhsa_workgroup_processor_mode 1
		.amdhsa_memory_ordered 1
		.amdhsa_forward_progress 0
		.amdhsa_shared_vgpr_count 0
		.amdhsa_exception_fp_ieee_invalid_op 0
		.amdhsa_exception_fp_denorm_src 0
		.amdhsa_exception_fp_ieee_div_zero 0
		.amdhsa_exception_fp_ieee_overflow 0
		.amdhsa_exception_fp_ieee_underflow 0
		.amdhsa_exception_fp_ieee_inexact 0
		.amdhsa_exception_int_div_zero 0
	.end_amdhsa_kernel
	.section	.text._Z17warp_store_kernelILj1024ELj4ELj32ELN7rocprim17ROCPRIM_304000_NS17warp_store_methodE0EiEvPT3_S4_,"axG",@progbits,_Z17warp_store_kernelILj1024ELj4ELj32ELN7rocprim17ROCPRIM_304000_NS17warp_store_methodE0EiEvPT3_S4_,comdat
.Lfunc_end35:
	.size	_Z17warp_store_kernelILj1024ELj4ELj32ELN7rocprim17ROCPRIM_304000_NS17warp_store_methodE0EiEvPT3_S4_, .Lfunc_end35-_Z17warp_store_kernelILj1024ELj4ELj32ELN7rocprim17ROCPRIM_304000_NS17warp_store_methodE0EiEvPT3_S4_
                                        ; -- End function
	.section	.AMDGPU.csdata,"",@progbits
; Kernel info:
; codeLenInByte = 108
; NumSgprs: 6
; NumVgprs: 7
; ScratchSize: 0
; MemoryBound: 0
; FloatMode: 240
; IeeeMode: 1
; LDSByteSize: 0 bytes/workgroup (compile time only)
; SGPRBlocks: 0
; VGPRBlocks: 0
; NumSGPRsForWavesPerEU: 6
; NumVGPRsForWavesPerEU: 7
; Occupancy: 16
; WaveLimiterHint : 0
; COMPUTE_PGM_RSRC2:SCRATCH_EN: 0
; COMPUTE_PGM_RSRC2:USER_SGPR: 15
; COMPUTE_PGM_RSRC2:TRAP_HANDLER: 0
; COMPUTE_PGM_RSRC2:TGID_X_EN: 1
; COMPUTE_PGM_RSRC2:TGID_Y_EN: 0
; COMPUTE_PGM_RSRC2:TGID_Z_EN: 0
; COMPUTE_PGM_RSRC2:TIDIG_COMP_CNT: 0
	.section	.text._Z17warp_store_kernelILj1024ELj4ELj8ELN7rocprim17ROCPRIM_304000_NS17warp_store_methodE3EiEvPT3_S4_,"axG",@progbits,_Z17warp_store_kernelILj1024ELj4ELj8ELN7rocprim17ROCPRIM_304000_NS17warp_store_methodE3EiEvPT3_S4_,comdat
	.protected	_Z17warp_store_kernelILj1024ELj4ELj8ELN7rocprim17ROCPRIM_304000_NS17warp_store_methodE3EiEvPT3_S4_ ; -- Begin function _Z17warp_store_kernelILj1024ELj4ELj8ELN7rocprim17ROCPRIM_304000_NS17warp_store_methodE3EiEvPT3_S4_
	.globl	_Z17warp_store_kernelILj1024ELj4ELj8ELN7rocprim17ROCPRIM_304000_NS17warp_store_methodE3EiEvPT3_S4_
	.p2align	8
	.type	_Z17warp_store_kernelILj1024ELj4ELj8ELN7rocprim17ROCPRIM_304000_NS17warp_store_methodE3EiEvPT3_S4_,@function
_Z17warp_store_kernelILj1024ELj4ELj8ELN7rocprim17ROCPRIM_304000_NS17warp_store_methodE3EiEvPT3_S4_: ; @_Z17warp_store_kernelILj1024ELj4ELj8ELN7rocprim17ROCPRIM_304000_NS17warp_store_methodE3EiEvPT3_S4_
; %bb.0:
	s_load_b128 s[0:3], s[0:1], 0x0
	v_lshlrev_b32_e32 v4, 4, v0
	v_mbcnt_lo_u32_b32 v5, -1, 0
	s_delay_alu instid0(VALU_DEP_1) | instskip(SKIP_3) | instid1(VALU_DEP_1)
	v_and_b32_e32 v5, 7, v5
	s_waitcnt lgkmcnt(0)
	global_load_b128 v[0:3], v4, s[0:1]
	v_and_b32_e32 v4, 0x3f80, v4
	v_lshl_or_b32 v6, v5, 4, v4
	v_add_co_u32 v4, s0, s2, v4
	s_delay_alu instid0(VALU_DEP_2) | instskip(SKIP_1) | instid1(VALU_DEP_1)
	v_mad_i32_i24 v7, v5, -12, v6
	v_lshlrev_b32_e32 v5, 2, v5
	v_add_co_u32 v4, vcc_lo, v4, v5
	s_waitcnt vmcnt(0)
	ds_store_b128 v6, v[0:3]
	; wave barrier
	ds_load_2addr_b32 v[0:1], v7 offset1:8
	ds_load_2addr_b32 v[2:3], v7 offset0:16 offset1:24
	v_add_co_ci_u32_e64 v6, null, s3, 0, s0
	s_delay_alu instid0(VALU_DEP_1)
	v_add_co_ci_u32_e32 v5, vcc_lo, 0, v6, vcc_lo
	s_waitcnt lgkmcnt(1)
	s_clause 0x1
	global_store_b32 v[4:5], v0, off
	global_store_b32 v[4:5], v1, off offset:32
	s_waitcnt lgkmcnt(0)
	s_clause 0x1
	global_store_b32 v[4:5], v2, off offset:64
	global_store_b32 v[4:5], v3, off offset:96
	s_nop 0
	s_sendmsg sendmsg(MSG_DEALLOC_VGPRS)
	s_endpgm
	.section	.rodata,"a",@progbits
	.p2align	6, 0x0
	.amdhsa_kernel _Z17warp_store_kernelILj1024ELj4ELj8ELN7rocprim17ROCPRIM_304000_NS17warp_store_methodE3EiEvPT3_S4_
		.amdhsa_group_segment_fixed_size 16384
		.amdhsa_private_segment_fixed_size 0
		.amdhsa_kernarg_size 16
		.amdhsa_user_sgpr_count 15
		.amdhsa_user_sgpr_dispatch_ptr 0
		.amdhsa_user_sgpr_queue_ptr 0
		.amdhsa_user_sgpr_kernarg_segment_ptr 1
		.amdhsa_user_sgpr_dispatch_id 0
		.amdhsa_user_sgpr_private_segment_size 0
		.amdhsa_wavefront_size32 1
		.amdhsa_uses_dynamic_stack 0
		.amdhsa_enable_private_segment 0
		.amdhsa_system_sgpr_workgroup_id_x 1
		.amdhsa_system_sgpr_workgroup_id_y 0
		.amdhsa_system_sgpr_workgroup_id_z 0
		.amdhsa_system_sgpr_workgroup_info 0
		.amdhsa_system_vgpr_workitem_id 0
		.amdhsa_next_free_vgpr 8
		.amdhsa_next_free_sgpr 4
		.amdhsa_reserve_vcc 1
		.amdhsa_float_round_mode_32 0
		.amdhsa_float_round_mode_16_64 0
		.amdhsa_float_denorm_mode_32 3
		.amdhsa_float_denorm_mode_16_64 3
		.amdhsa_dx10_clamp 1
		.amdhsa_ieee_mode 1
		.amdhsa_fp16_overflow 0
		.amdhsa_workgroup_processor_mode 1
		.amdhsa_memory_ordered 1
		.amdhsa_forward_progress 0
		.amdhsa_shared_vgpr_count 0
		.amdhsa_exception_fp_ieee_invalid_op 0
		.amdhsa_exception_fp_denorm_src 0
		.amdhsa_exception_fp_ieee_div_zero 0
		.amdhsa_exception_fp_ieee_overflow 0
		.amdhsa_exception_fp_ieee_underflow 0
		.amdhsa_exception_fp_ieee_inexact 0
		.amdhsa_exception_int_div_zero 0
	.end_amdhsa_kernel
	.section	.text._Z17warp_store_kernelILj1024ELj4ELj8ELN7rocprim17ROCPRIM_304000_NS17warp_store_methodE3EiEvPT3_S4_,"axG",@progbits,_Z17warp_store_kernelILj1024ELj4ELj8ELN7rocprim17ROCPRIM_304000_NS17warp_store_methodE3EiEvPT3_S4_,comdat
.Lfunc_end36:
	.size	_Z17warp_store_kernelILj1024ELj4ELj8ELN7rocprim17ROCPRIM_304000_NS17warp_store_methodE3EiEvPT3_S4_, .Lfunc_end36-_Z17warp_store_kernelILj1024ELj4ELj8ELN7rocprim17ROCPRIM_304000_NS17warp_store_methodE3EiEvPT3_S4_
                                        ; -- End function
	.section	.AMDGPU.csdata,"",@progbits
; Kernel info:
; codeLenInByte = 192
; NumSgprs: 6
; NumVgprs: 8
; ScratchSize: 0
; MemoryBound: 0
; FloatMode: 240
; IeeeMode: 1
; LDSByteSize: 16384 bytes/workgroup (compile time only)
; SGPRBlocks: 0
; VGPRBlocks: 0
; NumSGPRsForWavesPerEU: 6
; NumVGPRsForWavesPerEU: 8
; Occupancy: 16
; WaveLimiterHint : 0
; COMPUTE_PGM_RSRC2:SCRATCH_EN: 0
; COMPUTE_PGM_RSRC2:USER_SGPR: 15
; COMPUTE_PGM_RSRC2:TRAP_HANDLER: 0
; COMPUTE_PGM_RSRC2:TGID_X_EN: 1
; COMPUTE_PGM_RSRC2:TGID_Y_EN: 0
; COMPUTE_PGM_RSRC2:TGID_Z_EN: 0
; COMPUTE_PGM_RSRC2:TIDIG_COMP_CNT: 0
	.section	.text._Z17warp_store_kernelILj1024ELj4ELj8ELN7rocprim17ROCPRIM_304000_NS17warp_store_methodE2EiEvPT3_S4_,"axG",@progbits,_Z17warp_store_kernelILj1024ELj4ELj8ELN7rocprim17ROCPRIM_304000_NS17warp_store_methodE2EiEvPT3_S4_,comdat
	.protected	_Z17warp_store_kernelILj1024ELj4ELj8ELN7rocprim17ROCPRIM_304000_NS17warp_store_methodE2EiEvPT3_S4_ ; -- Begin function _Z17warp_store_kernelILj1024ELj4ELj8ELN7rocprim17ROCPRIM_304000_NS17warp_store_methodE2EiEvPT3_S4_
	.globl	_Z17warp_store_kernelILj1024ELj4ELj8ELN7rocprim17ROCPRIM_304000_NS17warp_store_methodE2EiEvPT3_S4_
	.p2align	8
	.type	_Z17warp_store_kernelILj1024ELj4ELj8ELN7rocprim17ROCPRIM_304000_NS17warp_store_methodE2EiEvPT3_S4_,@function
_Z17warp_store_kernelILj1024ELj4ELj8ELN7rocprim17ROCPRIM_304000_NS17warp_store_methodE2EiEvPT3_S4_: ; @_Z17warp_store_kernelILj1024ELj4ELj8ELN7rocprim17ROCPRIM_304000_NS17warp_store_methodE2EiEvPT3_S4_
; %bb.0:
	s_load_b128 s[0:3], s[0:1], 0x0
	v_lshlrev_b32_e32 v4, 4, v0
	v_mbcnt_lo_u32_b32 v5, -1, 0
	s_delay_alu instid0(VALU_DEP_1) | instskip(NEXT) | instid1(VALU_DEP_1)
	v_and_b32_e32 v5, 7, v5
	v_lshlrev_b32_e32 v5, 4, v5
	s_waitcnt lgkmcnt(0)
	global_load_b128 v[0:3], v4, s[0:1]
	v_and_b32_e32 v4, 0x3f80, v4
	s_delay_alu instid0(VALU_DEP_1) | instskip(NEXT) | instid1(VALU_DEP_1)
	v_add_co_u32 v4, s0, s2, v4
	v_add_co_ci_u32_e64 v6, null, s3, 0, s0
	s_delay_alu instid0(VALU_DEP_2) | instskip(NEXT) | instid1(VALU_DEP_2)
	v_add_co_u32 v4, vcc_lo, v4, v5
	v_add_co_ci_u32_e32 v5, vcc_lo, 0, v6, vcc_lo
	s_waitcnt vmcnt(0)
	global_store_b128 v[4:5], v[0:3], off
	s_nop 0
	s_sendmsg sendmsg(MSG_DEALLOC_VGPRS)
	s_endpgm
	.section	.rodata,"a",@progbits
	.p2align	6, 0x0
	.amdhsa_kernel _Z17warp_store_kernelILj1024ELj4ELj8ELN7rocprim17ROCPRIM_304000_NS17warp_store_methodE2EiEvPT3_S4_
		.amdhsa_group_segment_fixed_size 0
		.amdhsa_private_segment_fixed_size 0
		.amdhsa_kernarg_size 16
		.amdhsa_user_sgpr_count 15
		.amdhsa_user_sgpr_dispatch_ptr 0
		.amdhsa_user_sgpr_queue_ptr 0
		.amdhsa_user_sgpr_kernarg_segment_ptr 1
		.amdhsa_user_sgpr_dispatch_id 0
		.amdhsa_user_sgpr_private_segment_size 0
		.amdhsa_wavefront_size32 1
		.amdhsa_uses_dynamic_stack 0
		.amdhsa_enable_private_segment 0
		.amdhsa_system_sgpr_workgroup_id_x 1
		.amdhsa_system_sgpr_workgroup_id_y 0
		.amdhsa_system_sgpr_workgroup_id_z 0
		.amdhsa_system_sgpr_workgroup_info 0
		.amdhsa_system_vgpr_workitem_id 0
		.amdhsa_next_free_vgpr 7
		.amdhsa_next_free_sgpr 4
		.amdhsa_reserve_vcc 1
		.amdhsa_float_round_mode_32 0
		.amdhsa_float_round_mode_16_64 0
		.amdhsa_float_denorm_mode_32 3
		.amdhsa_float_denorm_mode_16_64 3
		.amdhsa_dx10_clamp 1
		.amdhsa_ieee_mode 1
		.amdhsa_fp16_overflow 0
		.amdhsa_workgroup_processor_mode 1
		.amdhsa_memory_ordered 1
		.amdhsa_forward_progress 0
		.amdhsa_shared_vgpr_count 0
		.amdhsa_exception_fp_ieee_invalid_op 0
		.amdhsa_exception_fp_denorm_src 0
		.amdhsa_exception_fp_ieee_div_zero 0
		.amdhsa_exception_fp_ieee_overflow 0
		.amdhsa_exception_fp_ieee_underflow 0
		.amdhsa_exception_fp_ieee_inexact 0
		.amdhsa_exception_int_div_zero 0
	.end_amdhsa_kernel
	.section	.text._Z17warp_store_kernelILj1024ELj4ELj8ELN7rocprim17ROCPRIM_304000_NS17warp_store_methodE2EiEvPT3_S4_,"axG",@progbits,_Z17warp_store_kernelILj1024ELj4ELj8ELN7rocprim17ROCPRIM_304000_NS17warp_store_methodE2EiEvPT3_S4_,comdat
.Lfunc_end37:
	.size	_Z17warp_store_kernelILj1024ELj4ELj8ELN7rocprim17ROCPRIM_304000_NS17warp_store_methodE2EiEvPT3_S4_, .Lfunc_end37-_Z17warp_store_kernelILj1024ELj4ELj8ELN7rocprim17ROCPRIM_304000_NS17warp_store_methodE2EiEvPT3_S4_
                                        ; -- End function
	.section	.AMDGPU.csdata,"",@progbits
; Kernel info:
; codeLenInByte = 112
; NumSgprs: 6
; NumVgprs: 7
; ScratchSize: 0
; MemoryBound: 0
; FloatMode: 240
; IeeeMode: 1
; LDSByteSize: 0 bytes/workgroup (compile time only)
; SGPRBlocks: 0
; VGPRBlocks: 0
; NumSGPRsForWavesPerEU: 6
; NumVGPRsForWavesPerEU: 7
; Occupancy: 16
; WaveLimiterHint : 0
; COMPUTE_PGM_RSRC2:SCRATCH_EN: 0
; COMPUTE_PGM_RSRC2:USER_SGPR: 15
; COMPUTE_PGM_RSRC2:TRAP_HANDLER: 0
; COMPUTE_PGM_RSRC2:TGID_X_EN: 1
; COMPUTE_PGM_RSRC2:TGID_Y_EN: 0
; COMPUTE_PGM_RSRC2:TGID_Z_EN: 0
; COMPUTE_PGM_RSRC2:TIDIG_COMP_CNT: 0
	.section	.text._Z17warp_store_kernelILj1024ELj4ELj8ELN7rocprim17ROCPRIM_304000_NS17warp_store_methodE1EiEvPT3_S4_,"axG",@progbits,_Z17warp_store_kernelILj1024ELj4ELj8ELN7rocprim17ROCPRIM_304000_NS17warp_store_methodE1EiEvPT3_S4_,comdat
	.protected	_Z17warp_store_kernelILj1024ELj4ELj8ELN7rocprim17ROCPRIM_304000_NS17warp_store_methodE1EiEvPT3_S4_ ; -- Begin function _Z17warp_store_kernelILj1024ELj4ELj8ELN7rocprim17ROCPRIM_304000_NS17warp_store_methodE1EiEvPT3_S4_
	.globl	_Z17warp_store_kernelILj1024ELj4ELj8ELN7rocprim17ROCPRIM_304000_NS17warp_store_methodE1EiEvPT3_S4_
	.p2align	8
	.type	_Z17warp_store_kernelILj1024ELj4ELj8ELN7rocprim17ROCPRIM_304000_NS17warp_store_methodE1EiEvPT3_S4_,@function
_Z17warp_store_kernelILj1024ELj4ELj8ELN7rocprim17ROCPRIM_304000_NS17warp_store_methodE1EiEvPT3_S4_: ; @_Z17warp_store_kernelILj1024ELj4ELj8ELN7rocprim17ROCPRIM_304000_NS17warp_store_methodE1EiEvPT3_S4_
; %bb.0:
	s_load_b128 s[0:3], s[0:1], 0x0
	v_lshlrev_b32_e32 v4, 4, v0
	v_mbcnt_lo_u32_b32 v5, -1, 0
	s_delay_alu instid0(VALU_DEP_1) | instskip(NEXT) | instid1(VALU_DEP_1)
	v_and_b32_e32 v5, 7, v5
	v_lshlrev_b32_e32 v5, 2, v5
	s_waitcnt lgkmcnt(0)
	global_load_b128 v[0:3], v4, s[0:1]
	v_and_b32_e32 v4, 0x3f80, v4
	s_delay_alu instid0(VALU_DEP_1) | instskip(NEXT) | instid1(VALU_DEP_1)
	v_add_co_u32 v4, s0, s2, v4
	v_add_co_ci_u32_e64 v6, null, s3, 0, s0
	s_delay_alu instid0(VALU_DEP_2) | instskip(NEXT) | instid1(VALU_DEP_2)
	v_add_co_u32 v4, vcc_lo, v4, v5
	v_add_co_ci_u32_e32 v5, vcc_lo, 0, v6, vcc_lo
	s_waitcnt vmcnt(0)
	s_clause 0x3
	global_store_b32 v[4:5], v0, off
	global_store_b32 v[4:5], v1, off offset:32
	global_store_b32 v[4:5], v2, off offset:64
	;; [unrolled: 1-line block ×3, first 2 shown]
	s_nop 0
	s_sendmsg sendmsg(MSG_DEALLOC_VGPRS)
	s_endpgm
	.section	.rodata,"a",@progbits
	.p2align	6, 0x0
	.amdhsa_kernel _Z17warp_store_kernelILj1024ELj4ELj8ELN7rocprim17ROCPRIM_304000_NS17warp_store_methodE1EiEvPT3_S4_
		.amdhsa_group_segment_fixed_size 0
		.amdhsa_private_segment_fixed_size 0
		.amdhsa_kernarg_size 16
		.amdhsa_user_sgpr_count 15
		.amdhsa_user_sgpr_dispatch_ptr 0
		.amdhsa_user_sgpr_queue_ptr 0
		.amdhsa_user_sgpr_kernarg_segment_ptr 1
		.amdhsa_user_sgpr_dispatch_id 0
		.amdhsa_user_sgpr_private_segment_size 0
		.amdhsa_wavefront_size32 1
		.amdhsa_uses_dynamic_stack 0
		.amdhsa_enable_private_segment 0
		.amdhsa_system_sgpr_workgroup_id_x 1
		.amdhsa_system_sgpr_workgroup_id_y 0
		.amdhsa_system_sgpr_workgroup_id_z 0
		.amdhsa_system_sgpr_workgroup_info 0
		.amdhsa_system_vgpr_workitem_id 0
		.amdhsa_next_free_vgpr 7
		.amdhsa_next_free_sgpr 4
		.amdhsa_reserve_vcc 1
		.amdhsa_float_round_mode_32 0
		.amdhsa_float_round_mode_16_64 0
		.amdhsa_float_denorm_mode_32 3
		.amdhsa_float_denorm_mode_16_64 3
		.amdhsa_dx10_clamp 1
		.amdhsa_ieee_mode 1
		.amdhsa_fp16_overflow 0
		.amdhsa_workgroup_processor_mode 1
		.amdhsa_memory_ordered 1
		.amdhsa_forward_progress 0
		.amdhsa_shared_vgpr_count 0
		.amdhsa_exception_fp_ieee_invalid_op 0
		.amdhsa_exception_fp_denorm_src 0
		.amdhsa_exception_fp_ieee_div_zero 0
		.amdhsa_exception_fp_ieee_overflow 0
		.amdhsa_exception_fp_ieee_underflow 0
		.amdhsa_exception_fp_ieee_inexact 0
		.amdhsa_exception_int_div_zero 0
	.end_amdhsa_kernel
	.section	.text._Z17warp_store_kernelILj1024ELj4ELj8ELN7rocprim17ROCPRIM_304000_NS17warp_store_methodE1EiEvPT3_S4_,"axG",@progbits,_Z17warp_store_kernelILj1024ELj4ELj8ELN7rocprim17ROCPRIM_304000_NS17warp_store_methodE1EiEvPT3_S4_,comdat
.Lfunc_end38:
	.size	_Z17warp_store_kernelILj1024ELj4ELj8ELN7rocprim17ROCPRIM_304000_NS17warp_store_methodE1EiEvPT3_S4_, .Lfunc_end38-_Z17warp_store_kernelILj1024ELj4ELj8ELN7rocprim17ROCPRIM_304000_NS17warp_store_methodE1EiEvPT3_S4_
                                        ; -- End function
	.section	.AMDGPU.csdata,"",@progbits
; Kernel info:
; codeLenInByte = 140
; NumSgprs: 6
; NumVgprs: 7
; ScratchSize: 0
; MemoryBound: 0
; FloatMode: 240
; IeeeMode: 1
; LDSByteSize: 0 bytes/workgroup (compile time only)
; SGPRBlocks: 0
; VGPRBlocks: 0
; NumSGPRsForWavesPerEU: 6
; NumVGPRsForWavesPerEU: 7
; Occupancy: 16
; WaveLimiterHint : 0
; COMPUTE_PGM_RSRC2:SCRATCH_EN: 0
; COMPUTE_PGM_RSRC2:USER_SGPR: 15
; COMPUTE_PGM_RSRC2:TRAP_HANDLER: 0
; COMPUTE_PGM_RSRC2:TGID_X_EN: 1
; COMPUTE_PGM_RSRC2:TGID_Y_EN: 0
; COMPUTE_PGM_RSRC2:TGID_Z_EN: 0
; COMPUTE_PGM_RSRC2:TIDIG_COMP_CNT: 0
	.section	.text._Z17warp_store_kernelILj1024ELj4ELj8ELN7rocprim17ROCPRIM_304000_NS17warp_store_methodE0EiEvPT3_S4_,"axG",@progbits,_Z17warp_store_kernelILj1024ELj4ELj8ELN7rocprim17ROCPRIM_304000_NS17warp_store_methodE0EiEvPT3_S4_,comdat
	.protected	_Z17warp_store_kernelILj1024ELj4ELj8ELN7rocprim17ROCPRIM_304000_NS17warp_store_methodE0EiEvPT3_S4_ ; -- Begin function _Z17warp_store_kernelILj1024ELj4ELj8ELN7rocprim17ROCPRIM_304000_NS17warp_store_methodE0EiEvPT3_S4_
	.globl	_Z17warp_store_kernelILj1024ELj4ELj8ELN7rocprim17ROCPRIM_304000_NS17warp_store_methodE0EiEvPT3_S4_
	.p2align	8
	.type	_Z17warp_store_kernelILj1024ELj4ELj8ELN7rocprim17ROCPRIM_304000_NS17warp_store_methodE0EiEvPT3_S4_,@function
_Z17warp_store_kernelILj1024ELj4ELj8ELN7rocprim17ROCPRIM_304000_NS17warp_store_methodE0EiEvPT3_S4_: ; @_Z17warp_store_kernelILj1024ELj4ELj8ELN7rocprim17ROCPRIM_304000_NS17warp_store_methodE0EiEvPT3_S4_
; %bb.0:
	s_load_b128 s[0:3], s[0:1], 0x0
	v_lshlrev_b32_e32 v4, 4, v0
	v_mbcnt_lo_u32_b32 v5, -1, 0
	s_delay_alu instid0(VALU_DEP_1) | instskip(NEXT) | instid1(VALU_DEP_1)
	v_lshlrev_b32_e32 v5, 4, v5
	v_and_b32_e32 v5, 0x70, v5
	s_waitcnt lgkmcnt(0)
	global_load_b128 v[0:3], v4, s[0:1]
	v_and_b32_e32 v4, 0x3f80, v4
	s_delay_alu instid0(VALU_DEP_1) | instskip(NEXT) | instid1(VALU_DEP_1)
	v_add_co_u32 v4, s0, s2, v4
	v_add_co_ci_u32_e64 v6, null, s3, 0, s0
	s_delay_alu instid0(VALU_DEP_2) | instskip(NEXT) | instid1(VALU_DEP_2)
	v_add_co_u32 v4, vcc_lo, v4, v5
	v_add_co_ci_u32_e32 v5, vcc_lo, 0, v6, vcc_lo
	s_waitcnt vmcnt(0)
	global_store_b128 v[4:5], v[0:3], off
	s_nop 0
	s_sendmsg sendmsg(MSG_DEALLOC_VGPRS)
	s_endpgm
	.section	.rodata,"a",@progbits
	.p2align	6, 0x0
	.amdhsa_kernel _Z17warp_store_kernelILj1024ELj4ELj8ELN7rocprim17ROCPRIM_304000_NS17warp_store_methodE0EiEvPT3_S4_
		.amdhsa_group_segment_fixed_size 0
		.amdhsa_private_segment_fixed_size 0
		.amdhsa_kernarg_size 16
		.amdhsa_user_sgpr_count 15
		.amdhsa_user_sgpr_dispatch_ptr 0
		.amdhsa_user_sgpr_queue_ptr 0
		.amdhsa_user_sgpr_kernarg_segment_ptr 1
		.amdhsa_user_sgpr_dispatch_id 0
		.amdhsa_user_sgpr_private_segment_size 0
		.amdhsa_wavefront_size32 1
		.amdhsa_uses_dynamic_stack 0
		.amdhsa_enable_private_segment 0
		.amdhsa_system_sgpr_workgroup_id_x 1
		.amdhsa_system_sgpr_workgroup_id_y 0
		.amdhsa_system_sgpr_workgroup_id_z 0
		.amdhsa_system_sgpr_workgroup_info 0
		.amdhsa_system_vgpr_workitem_id 0
		.amdhsa_next_free_vgpr 7
		.amdhsa_next_free_sgpr 4
		.amdhsa_reserve_vcc 1
		.amdhsa_float_round_mode_32 0
		.amdhsa_float_round_mode_16_64 0
		.amdhsa_float_denorm_mode_32 3
		.amdhsa_float_denorm_mode_16_64 3
		.amdhsa_dx10_clamp 1
		.amdhsa_ieee_mode 1
		.amdhsa_fp16_overflow 0
		.amdhsa_workgroup_processor_mode 1
		.amdhsa_memory_ordered 1
		.amdhsa_forward_progress 0
		.amdhsa_shared_vgpr_count 0
		.amdhsa_exception_fp_ieee_invalid_op 0
		.amdhsa_exception_fp_denorm_src 0
		.amdhsa_exception_fp_ieee_div_zero 0
		.amdhsa_exception_fp_ieee_overflow 0
		.amdhsa_exception_fp_ieee_underflow 0
		.amdhsa_exception_fp_ieee_inexact 0
		.amdhsa_exception_int_div_zero 0
	.end_amdhsa_kernel
	.section	.text._Z17warp_store_kernelILj1024ELj4ELj8ELN7rocprim17ROCPRIM_304000_NS17warp_store_methodE0EiEvPT3_S4_,"axG",@progbits,_Z17warp_store_kernelILj1024ELj4ELj8ELN7rocprim17ROCPRIM_304000_NS17warp_store_methodE0EiEvPT3_S4_,comdat
.Lfunc_end39:
	.size	_Z17warp_store_kernelILj1024ELj4ELj8ELN7rocprim17ROCPRIM_304000_NS17warp_store_methodE0EiEvPT3_S4_, .Lfunc_end39-_Z17warp_store_kernelILj1024ELj4ELj8ELN7rocprim17ROCPRIM_304000_NS17warp_store_methodE0EiEvPT3_S4_
                                        ; -- End function
	.section	.AMDGPU.csdata,"",@progbits
; Kernel info:
; codeLenInByte = 116
; NumSgprs: 6
; NumVgprs: 7
; ScratchSize: 0
; MemoryBound: 0
; FloatMode: 240
; IeeeMode: 1
; LDSByteSize: 0 bytes/workgroup (compile time only)
; SGPRBlocks: 0
; VGPRBlocks: 0
; NumSGPRsForWavesPerEU: 6
; NumVGPRsForWavesPerEU: 7
; Occupancy: 16
; WaveLimiterHint : 0
; COMPUTE_PGM_RSRC2:SCRATCH_EN: 0
; COMPUTE_PGM_RSRC2:USER_SGPR: 15
; COMPUTE_PGM_RSRC2:TRAP_HANDLER: 0
; COMPUTE_PGM_RSRC2:TGID_X_EN: 1
; COMPUTE_PGM_RSRC2:TGID_Y_EN: 0
; COMPUTE_PGM_RSRC2:TGID_Z_EN: 0
; COMPUTE_PGM_RSRC2:TIDIG_COMP_CNT: 0
	.section	.text._Z25warp_store_guarded_kernelILj1024ELj4ELj1ELN7rocprim17ROCPRIM_304000_NS17warp_store_methodE3E12hip_bfloat16EvPT3_S5_i,"axG",@progbits,_Z25warp_store_guarded_kernelILj1024ELj4ELj1ELN7rocprim17ROCPRIM_304000_NS17warp_store_methodE3E12hip_bfloat16EvPT3_S5_i,comdat
	.protected	_Z25warp_store_guarded_kernelILj1024ELj4ELj1ELN7rocprim17ROCPRIM_304000_NS17warp_store_methodE3E12hip_bfloat16EvPT3_S5_i ; -- Begin function _Z25warp_store_guarded_kernelILj1024ELj4ELj1ELN7rocprim17ROCPRIM_304000_NS17warp_store_methodE3E12hip_bfloat16EvPT3_S5_i
	.globl	_Z25warp_store_guarded_kernelILj1024ELj4ELj1ELN7rocprim17ROCPRIM_304000_NS17warp_store_methodE3E12hip_bfloat16EvPT3_S5_i
	.p2align	8
	.type	_Z25warp_store_guarded_kernelILj1024ELj4ELj1ELN7rocprim17ROCPRIM_304000_NS17warp_store_methodE3E12hip_bfloat16EvPT3_S5_i,@function
_Z25warp_store_guarded_kernelILj1024ELj4ELj1ELN7rocprim17ROCPRIM_304000_NS17warp_store_methodE3E12hip_bfloat16EvPT3_S5_i: ; @_Z25warp_store_guarded_kernelILj1024ELj4ELj1ELN7rocprim17ROCPRIM_304000_NS17warp_store_methodE3E12hip_bfloat16EvPT3_S5_i
; %bb.0:
	s_load_b128 s[4:7], s[0:1], 0x0
	v_lshlrev_b32_e32 v2, 3, v0
	s_load_b32 s0, s[0:1], 0x10
	s_waitcnt lgkmcnt(0)
	global_load_b64 v[3:4], v2, s[4:5]
	v_add_co_u32 v0, s1, s6, v2
	s_delay_alu instid0(VALU_DEP_1)
	v_add_co_ci_u32_e64 v1, null, s7, 0, s1
	s_cmp_eq_u32 s0, 0
	s_waitcnt vmcnt(0)
	ds_store_b64 v2, v[3:4]
	; wave barrier
	s_cbranch_scc1 .LBB40_2
; %bb.1:
	ds_load_u16 v3, v2
	s_waitcnt lgkmcnt(0)
	global_store_b16 v[0:1], v3, off
.LBB40_2:
	s_cmp_lt_u32 s0, 2
	s_cbranch_scc0 .LBB40_6
; %bb.3:
	ds_load_b32 v2, v2 offset:4
	s_cmp_lt_u32 s0, 3
	s_cbranch_scc0 .LBB40_7
.LBB40_4:
	s_cmp_lt_u32 s0, 4
	s_cbranch_scc0 .LBB40_8
.LBB40_5:
	s_nop 0
	s_sendmsg sendmsg(MSG_DEALLOC_VGPRS)
	s_endpgm
.LBB40_6:
	ds_load_u16 v3, v2 offset:2
	s_waitcnt lgkmcnt(0)
	global_store_b16 v[0:1], v3, off offset:2
	ds_load_b32 v2, v2 offset:4
	s_cmp_lt_u32 s0, 3
	s_cbranch_scc1 .LBB40_4
.LBB40_7:
	s_waitcnt lgkmcnt(0)
	global_store_b16 v[0:1], v2, off offset:4
	s_cmp_lt_u32 s0, 4
	s_cbranch_scc1 .LBB40_5
.LBB40_8:
	s_waitcnt lgkmcnt(0)
	global_store_d16_hi_b16 v[0:1], v2, off offset:6
	s_nop 0
	s_sendmsg sendmsg(MSG_DEALLOC_VGPRS)
	s_endpgm
	.section	.rodata,"a",@progbits
	.p2align	6, 0x0
	.amdhsa_kernel _Z25warp_store_guarded_kernelILj1024ELj4ELj1ELN7rocprim17ROCPRIM_304000_NS17warp_store_methodE3E12hip_bfloat16EvPT3_S5_i
		.amdhsa_group_segment_fixed_size 8192
		.amdhsa_private_segment_fixed_size 0
		.amdhsa_kernarg_size 20
		.amdhsa_user_sgpr_count 15
		.amdhsa_user_sgpr_dispatch_ptr 0
		.amdhsa_user_sgpr_queue_ptr 0
		.amdhsa_user_sgpr_kernarg_segment_ptr 1
		.amdhsa_user_sgpr_dispatch_id 0
		.amdhsa_user_sgpr_private_segment_size 0
		.amdhsa_wavefront_size32 1
		.amdhsa_uses_dynamic_stack 0
		.amdhsa_enable_private_segment 0
		.amdhsa_system_sgpr_workgroup_id_x 1
		.amdhsa_system_sgpr_workgroup_id_y 0
		.amdhsa_system_sgpr_workgroup_id_z 0
		.amdhsa_system_sgpr_workgroup_info 0
		.amdhsa_system_vgpr_workitem_id 0
		.amdhsa_next_free_vgpr 5
		.amdhsa_next_free_sgpr 8
		.amdhsa_reserve_vcc 0
		.amdhsa_float_round_mode_32 0
		.amdhsa_float_round_mode_16_64 0
		.amdhsa_float_denorm_mode_32 3
		.amdhsa_float_denorm_mode_16_64 3
		.amdhsa_dx10_clamp 1
		.amdhsa_ieee_mode 1
		.amdhsa_fp16_overflow 0
		.amdhsa_workgroup_processor_mode 1
		.amdhsa_memory_ordered 1
		.amdhsa_forward_progress 0
		.amdhsa_shared_vgpr_count 0
		.amdhsa_exception_fp_ieee_invalid_op 0
		.amdhsa_exception_fp_denorm_src 0
		.amdhsa_exception_fp_ieee_div_zero 0
		.amdhsa_exception_fp_ieee_overflow 0
		.amdhsa_exception_fp_ieee_underflow 0
		.amdhsa_exception_fp_ieee_inexact 0
		.amdhsa_exception_int_div_zero 0
	.end_amdhsa_kernel
	.section	.text._Z25warp_store_guarded_kernelILj1024ELj4ELj1ELN7rocprim17ROCPRIM_304000_NS17warp_store_methodE3E12hip_bfloat16EvPT3_S5_i,"axG",@progbits,_Z25warp_store_guarded_kernelILj1024ELj4ELj1ELN7rocprim17ROCPRIM_304000_NS17warp_store_methodE3E12hip_bfloat16EvPT3_S5_i,comdat
.Lfunc_end40:
	.size	_Z25warp_store_guarded_kernelILj1024ELj4ELj1ELN7rocprim17ROCPRIM_304000_NS17warp_store_methodE3E12hip_bfloat16EvPT3_S5_i, .Lfunc_end40-_Z25warp_store_guarded_kernelILj1024ELj4ELj1ELN7rocprim17ROCPRIM_304000_NS17warp_store_methodE3E12hip_bfloat16EvPT3_S5_i
                                        ; -- End function
	.section	.AMDGPU.csdata,"",@progbits
; Kernel info:
; codeLenInByte = 216
; NumSgprs: 8
; NumVgprs: 5
; ScratchSize: 0
; MemoryBound: 0
; FloatMode: 240
; IeeeMode: 1
; LDSByteSize: 8192 bytes/workgroup (compile time only)
; SGPRBlocks: 0
; VGPRBlocks: 0
; NumSGPRsForWavesPerEU: 8
; NumVGPRsForWavesPerEU: 5
; Occupancy: 16
; WaveLimiterHint : 0
; COMPUTE_PGM_RSRC2:SCRATCH_EN: 0
; COMPUTE_PGM_RSRC2:USER_SGPR: 15
; COMPUTE_PGM_RSRC2:TRAP_HANDLER: 0
; COMPUTE_PGM_RSRC2:TGID_X_EN: 1
; COMPUTE_PGM_RSRC2:TGID_Y_EN: 0
; COMPUTE_PGM_RSRC2:TGID_Z_EN: 0
; COMPUTE_PGM_RSRC2:TIDIG_COMP_CNT: 0
	.section	.text._Z25warp_store_guarded_kernelILj1024ELj4ELj1ELN7rocprim17ROCPRIM_304000_NS17warp_store_methodE2E12hip_bfloat16EvPT3_S5_i,"axG",@progbits,_Z25warp_store_guarded_kernelILj1024ELj4ELj1ELN7rocprim17ROCPRIM_304000_NS17warp_store_methodE2E12hip_bfloat16EvPT3_S5_i,comdat
	.protected	_Z25warp_store_guarded_kernelILj1024ELj4ELj1ELN7rocprim17ROCPRIM_304000_NS17warp_store_methodE2E12hip_bfloat16EvPT3_S5_i ; -- Begin function _Z25warp_store_guarded_kernelILj1024ELj4ELj1ELN7rocprim17ROCPRIM_304000_NS17warp_store_methodE2E12hip_bfloat16EvPT3_S5_i
	.globl	_Z25warp_store_guarded_kernelILj1024ELj4ELj1ELN7rocprim17ROCPRIM_304000_NS17warp_store_methodE2E12hip_bfloat16EvPT3_S5_i
	.p2align	8
	.type	_Z25warp_store_guarded_kernelILj1024ELj4ELj1ELN7rocprim17ROCPRIM_304000_NS17warp_store_methodE2E12hip_bfloat16EvPT3_S5_i,@function
_Z25warp_store_guarded_kernelILj1024ELj4ELj1ELN7rocprim17ROCPRIM_304000_NS17warp_store_methodE2E12hip_bfloat16EvPT3_S5_i: ; @_Z25warp_store_guarded_kernelILj1024ELj4ELj1ELN7rocprim17ROCPRIM_304000_NS17warp_store_methodE2E12hip_bfloat16EvPT3_S5_i
; %bb.0:
	s_load_b128 s[4:7], s[0:1], 0x0
	v_lshlrev_b32_e32 v4, 3, v0
	s_load_b32 s0, s[0:1], 0x10
	s_waitcnt lgkmcnt(0)
	s_clause 0x1
	global_load_d16_b16 v2, v4, s[4:5] offset:6
	global_load_b32 v3, v4, s[4:5] offset:2
	v_add_co_u32 v0, s1, s6, v4
	s_delay_alu instid0(VALU_DEP_1)
	v_add_co_ci_u32_e64 v1, null, s7, 0, s1
	s_cmp_eq_u32 s0, 0
	s_cbranch_scc1 .LBB41_2
; %bb.1:
	v_add_co_u32 v4, s1, s4, v4
	s_delay_alu instid0(VALU_DEP_1)
	v_add_co_ci_u32_e64 v5, null, s5, 0, s1
	global_load_u16 v4, v[4:5], off
	s_waitcnt vmcnt(0)
	global_store_b16 v[0:1], v4, off
.LBB41_2:
	s_cmp_lt_u32 s0, 2
	s_cbranch_scc0 .LBB41_6
; %bb.3:
	s_cmp_lt_u32 s0, 3
	s_cbranch_scc0 .LBB41_7
.LBB41_4:
	s_cmp_lt_u32 s0, 4
	s_cbranch_scc0 .LBB41_8
.LBB41_5:
	s_nop 0
	s_sendmsg sendmsg(MSG_DEALLOC_VGPRS)
	s_endpgm
.LBB41_6:
	s_waitcnt vmcnt(0)
	global_store_b16 v[0:1], v3, off offset:2
	s_cmp_lt_u32 s0, 3
	s_cbranch_scc1 .LBB41_4
.LBB41_7:
	s_waitcnt vmcnt(0)
	global_store_d16_hi_b16 v[0:1], v3, off offset:4
	s_cmp_lt_u32 s0, 4
	s_cbranch_scc1 .LBB41_5
.LBB41_8:
	s_waitcnt vmcnt(1)
	global_store_b16 v[0:1], v2, off offset:6
	s_nop 0
	s_sendmsg sendmsg(MSG_DEALLOC_VGPRS)
	s_endpgm
	.section	.rodata,"a",@progbits
	.p2align	6, 0x0
	.amdhsa_kernel _Z25warp_store_guarded_kernelILj1024ELj4ELj1ELN7rocprim17ROCPRIM_304000_NS17warp_store_methodE2E12hip_bfloat16EvPT3_S5_i
		.amdhsa_group_segment_fixed_size 0
		.amdhsa_private_segment_fixed_size 0
		.amdhsa_kernarg_size 20
		.amdhsa_user_sgpr_count 15
		.amdhsa_user_sgpr_dispatch_ptr 0
		.amdhsa_user_sgpr_queue_ptr 0
		.amdhsa_user_sgpr_kernarg_segment_ptr 1
		.amdhsa_user_sgpr_dispatch_id 0
		.amdhsa_user_sgpr_private_segment_size 0
		.amdhsa_wavefront_size32 1
		.amdhsa_uses_dynamic_stack 0
		.amdhsa_enable_private_segment 0
		.amdhsa_system_sgpr_workgroup_id_x 1
		.amdhsa_system_sgpr_workgroup_id_y 0
		.amdhsa_system_sgpr_workgroup_id_z 0
		.amdhsa_system_sgpr_workgroup_info 0
		.amdhsa_system_vgpr_workitem_id 0
		.amdhsa_next_free_vgpr 6
		.amdhsa_next_free_sgpr 8
		.amdhsa_reserve_vcc 0
		.amdhsa_float_round_mode_32 0
		.amdhsa_float_round_mode_16_64 0
		.amdhsa_float_denorm_mode_32 3
		.amdhsa_float_denorm_mode_16_64 3
		.amdhsa_dx10_clamp 1
		.amdhsa_ieee_mode 1
		.amdhsa_fp16_overflow 0
		.amdhsa_workgroup_processor_mode 1
		.amdhsa_memory_ordered 1
		.amdhsa_forward_progress 0
		.amdhsa_shared_vgpr_count 0
		.amdhsa_exception_fp_ieee_invalid_op 0
		.amdhsa_exception_fp_denorm_src 0
		.amdhsa_exception_fp_ieee_div_zero 0
		.amdhsa_exception_fp_ieee_overflow 0
		.amdhsa_exception_fp_ieee_underflow 0
		.amdhsa_exception_fp_ieee_inexact 0
		.amdhsa_exception_int_div_zero 0
	.end_amdhsa_kernel
	.section	.text._Z25warp_store_guarded_kernelILj1024ELj4ELj1ELN7rocprim17ROCPRIM_304000_NS17warp_store_methodE2E12hip_bfloat16EvPT3_S5_i,"axG",@progbits,_Z25warp_store_guarded_kernelILj1024ELj4ELj1ELN7rocprim17ROCPRIM_304000_NS17warp_store_methodE2E12hip_bfloat16EvPT3_S5_i,comdat
.Lfunc_end41:
	.size	_Z25warp_store_guarded_kernelILj1024ELj4ELj1ELN7rocprim17ROCPRIM_304000_NS17warp_store_methodE2E12hip_bfloat16EvPT3_S5_i, .Lfunc_end41-_Z25warp_store_guarded_kernelILj1024ELj4ELj1ELN7rocprim17ROCPRIM_304000_NS17warp_store_methodE2E12hip_bfloat16EvPT3_S5_i
                                        ; -- End function
	.section	.AMDGPU.csdata,"",@progbits
; Kernel info:
; codeLenInByte = 212
; NumSgprs: 8
; NumVgprs: 6
; ScratchSize: 0
; MemoryBound: 0
; FloatMode: 240
; IeeeMode: 1
; LDSByteSize: 0 bytes/workgroup (compile time only)
; SGPRBlocks: 0
; VGPRBlocks: 0
; NumSGPRsForWavesPerEU: 8
; NumVGPRsForWavesPerEU: 6
; Occupancy: 16
; WaveLimiterHint : 0
; COMPUTE_PGM_RSRC2:SCRATCH_EN: 0
; COMPUTE_PGM_RSRC2:USER_SGPR: 15
; COMPUTE_PGM_RSRC2:TRAP_HANDLER: 0
; COMPUTE_PGM_RSRC2:TGID_X_EN: 1
; COMPUTE_PGM_RSRC2:TGID_Y_EN: 0
; COMPUTE_PGM_RSRC2:TGID_Z_EN: 0
; COMPUTE_PGM_RSRC2:TIDIG_COMP_CNT: 0
	.section	.text._Z25warp_store_guarded_kernelILj1024ELj4ELj1ELN7rocprim17ROCPRIM_304000_NS17warp_store_methodE1E12hip_bfloat16EvPT3_S5_i,"axG",@progbits,_Z25warp_store_guarded_kernelILj1024ELj4ELj1ELN7rocprim17ROCPRIM_304000_NS17warp_store_methodE1E12hip_bfloat16EvPT3_S5_i,comdat
	.protected	_Z25warp_store_guarded_kernelILj1024ELj4ELj1ELN7rocprim17ROCPRIM_304000_NS17warp_store_methodE1E12hip_bfloat16EvPT3_S5_i ; -- Begin function _Z25warp_store_guarded_kernelILj1024ELj4ELj1ELN7rocprim17ROCPRIM_304000_NS17warp_store_methodE1E12hip_bfloat16EvPT3_S5_i
	.globl	_Z25warp_store_guarded_kernelILj1024ELj4ELj1ELN7rocprim17ROCPRIM_304000_NS17warp_store_methodE1E12hip_bfloat16EvPT3_S5_i
	.p2align	8
	.type	_Z25warp_store_guarded_kernelILj1024ELj4ELj1ELN7rocprim17ROCPRIM_304000_NS17warp_store_methodE1E12hip_bfloat16EvPT3_S5_i,@function
_Z25warp_store_guarded_kernelILj1024ELj4ELj1ELN7rocprim17ROCPRIM_304000_NS17warp_store_methodE1E12hip_bfloat16EvPT3_S5_i: ; @_Z25warp_store_guarded_kernelILj1024ELj4ELj1ELN7rocprim17ROCPRIM_304000_NS17warp_store_methodE1E12hip_bfloat16EvPT3_S5_i
; %bb.0:
	s_load_b128 s[4:7], s[0:1], 0x0
	v_lshlrev_b32_e32 v4, 3, v0
	s_load_b32 s0, s[0:1], 0x10
	s_waitcnt lgkmcnt(0)
	s_clause 0x1
	global_load_d16_b16 v2, v4, s[4:5] offset:6
	global_load_b32 v3, v4, s[4:5] offset:2
	v_add_co_u32 v0, s1, s6, v4
	s_delay_alu instid0(VALU_DEP_1)
	v_add_co_ci_u32_e64 v1, null, s7, 0, s1
	s_cmp_eq_u32 s0, 0
	s_cbranch_scc1 .LBB42_2
; %bb.1:
	v_add_co_u32 v4, s1, s4, v4
	s_delay_alu instid0(VALU_DEP_1)
	v_add_co_ci_u32_e64 v5, null, s5, 0, s1
	global_load_u16 v4, v[4:5], off
	s_waitcnt vmcnt(0)
	global_store_b16 v[0:1], v4, off
.LBB42_2:
	s_cmp_lt_u32 s0, 2
	s_cbranch_scc0 .LBB42_6
; %bb.3:
	s_cmp_lt_u32 s0, 3
	s_cbranch_scc0 .LBB42_7
.LBB42_4:
	s_cmp_lt_u32 s0, 4
	s_cbranch_scc0 .LBB42_8
.LBB42_5:
	s_nop 0
	s_sendmsg sendmsg(MSG_DEALLOC_VGPRS)
	s_endpgm
.LBB42_6:
	s_waitcnt vmcnt(0)
	global_store_b16 v[0:1], v3, off offset:2
	s_cmp_lt_u32 s0, 3
	s_cbranch_scc1 .LBB42_4
.LBB42_7:
	s_waitcnt vmcnt(0)
	global_store_d16_hi_b16 v[0:1], v3, off offset:4
	s_cmp_lt_u32 s0, 4
	s_cbranch_scc1 .LBB42_5
.LBB42_8:
	s_waitcnt vmcnt(1)
	global_store_b16 v[0:1], v2, off offset:6
	s_nop 0
	s_sendmsg sendmsg(MSG_DEALLOC_VGPRS)
	s_endpgm
	.section	.rodata,"a",@progbits
	.p2align	6, 0x0
	.amdhsa_kernel _Z25warp_store_guarded_kernelILj1024ELj4ELj1ELN7rocprim17ROCPRIM_304000_NS17warp_store_methodE1E12hip_bfloat16EvPT3_S5_i
		.amdhsa_group_segment_fixed_size 0
		.amdhsa_private_segment_fixed_size 0
		.amdhsa_kernarg_size 20
		.amdhsa_user_sgpr_count 15
		.amdhsa_user_sgpr_dispatch_ptr 0
		.amdhsa_user_sgpr_queue_ptr 0
		.amdhsa_user_sgpr_kernarg_segment_ptr 1
		.amdhsa_user_sgpr_dispatch_id 0
		.amdhsa_user_sgpr_private_segment_size 0
		.amdhsa_wavefront_size32 1
		.amdhsa_uses_dynamic_stack 0
		.amdhsa_enable_private_segment 0
		.amdhsa_system_sgpr_workgroup_id_x 1
		.amdhsa_system_sgpr_workgroup_id_y 0
		.amdhsa_system_sgpr_workgroup_id_z 0
		.amdhsa_system_sgpr_workgroup_info 0
		.amdhsa_system_vgpr_workitem_id 0
		.amdhsa_next_free_vgpr 6
		.amdhsa_next_free_sgpr 8
		.amdhsa_reserve_vcc 0
		.amdhsa_float_round_mode_32 0
		.amdhsa_float_round_mode_16_64 0
		.amdhsa_float_denorm_mode_32 3
		.amdhsa_float_denorm_mode_16_64 3
		.amdhsa_dx10_clamp 1
		.amdhsa_ieee_mode 1
		.amdhsa_fp16_overflow 0
		.amdhsa_workgroup_processor_mode 1
		.amdhsa_memory_ordered 1
		.amdhsa_forward_progress 0
		.amdhsa_shared_vgpr_count 0
		.amdhsa_exception_fp_ieee_invalid_op 0
		.amdhsa_exception_fp_denorm_src 0
		.amdhsa_exception_fp_ieee_div_zero 0
		.amdhsa_exception_fp_ieee_overflow 0
		.amdhsa_exception_fp_ieee_underflow 0
		.amdhsa_exception_fp_ieee_inexact 0
		.amdhsa_exception_int_div_zero 0
	.end_amdhsa_kernel
	.section	.text._Z25warp_store_guarded_kernelILj1024ELj4ELj1ELN7rocprim17ROCPRIM_304000_NS17warp_store_methodE1E12hip_bfloat16EvPT3_S5_i,"axG",@progbits,_Z25warp_store_guarded_kernelILj1024ELj4ELj1ELN7rocprim17ROCPRIM_304000_NS17warp_store_methodE1E12hip_bfloat16EvPT3_S5_i,comdat
.Lfunc_end42:
	.size	_Z25warp_store_guarded_kernelILj1024ELj4ELj1ELN7rocprim17ROCPRIM_304000_NS17warp_store_methodE1E12hip_bfloat16EvPT3_S5_i, .Lfunc_end42-_Z25warp_store_guarded_kernelILj1024ELj4ELj1ELN7rocprim17ROCPRIM_304000_NS17warp_store_methodE1E12hip_bfloat16EvPT3_S5_i
                                        ; -- End function
	.section	.AMDGPU.csdata,"",@progbits
; Kernel info:
; codeLenInByte = 212
; NumSgprs: 8
; NumVgprs: 6
; ScratchSize: 0
; MemoryBound: 0
; FloatMode: 240
; IeeeMode: 1
; LDSByteSize: 0 bytes/workgroup (compile time only)
; SGPRBlocks: 0
; VGPRBlocks: 0
; NumSGPRsForWavesPerEU: 8
; NumVGPRsForWavesPerEU: 6
; Occupancy: 16
; WaveLimiterHint : 0
; COMPUTE_PGM_RSRC2:SCRATCH_EN: 0
; COMPUTE_PGM_RSRC2:USER_SGPR: 15
; COMPUTE_PGM_RSRC2:TRAP_HANDLER: 0
; COMPUTE_PGM_RSRC2:TGID_X_EN: 1
; COMPUTE_PGM_RSRC2:TGID_Y_EN: 0
; COMPUTE_PGM_RSRC2:TGID_Z_EN: 0
; COMPUTE_PGM_RSRC2:TIDIG_COMP_CNT: 0
	.section	.text._Z25warp_store_guarded_kernelILj1024ELj4ELj1ELN7rocprim17ROCPRIM_304000_NS17warp_store_methodE0E12hip_bfloat16EvPT3_S5_i,"axG",@progbits,_Z25warp_store_guarded_kernelILj1024ELj4ELj1ELN7rocprim17ROCPRIM_304000_NS17warp_store_methodE0E12hip_bfloat16EvPT3_S5_i,comdat
	.protected	_Z25warp_store_guarded_kernelILj1024ELj4ELj1ELN7rocprim17ROCPRIM_304000_NS17warp_store_methodE0E12hip_bfloat16EvPT3_S5_i ; -- Begin function _Z25warp_store_guarded_kernelILj1024ELj4ELj1ELN7rocprim17ROCPRIM_304000_NS17warp_store_methodE0E12hip_bfloat16EvPT3_S5_i
	.globl	_Z25warp_store_guarded_kernelILj1024ELj4ELj1ELN7rocprim17ROCPRIM_304000_NS17warp_store_methodE0E12hip_bfloat16EvPT3_S5_i
	.p2align	8
	.type	_Z25warp_store_guarded_kernelILj1024ELj4ELj1ELN7rocprim17ROCPRIM_304000_NS17warp_store_methodE0E12hip_bfloat16EvPT3_S5_i,@function
_Z25warp_store_guarded_kernelILj1024ELj4ELj1ELN7rocprim17ROCPRIM_304000_NS17warp_store_methodE0E12hip_bfloat16EvPT3_S5_i: ; @_Z25warp_store_guarded_kernelILj1024ELj4ELj1ELN7rocprim17ROCPRIM_304000_NS17warp_store_methodE0E12hip_bfloat16EvPT3_S5_i
; %bb.0:
	s_load_b128 s[4:7], s[0:1], 0x0
	v_lshlrev_b32_e32 v4, 3, v0
	s_load_b32 s0, s[0:1], 0x10
	s_waitcnt lgkmcnt(0)
	s_clause 0x1
	global_load_d16_b16 v2, v4, s[4:5] offset:6
	global_load_b32 v3, v4, s[4:5] offset:2
	v_add_co_u32 v0, s1, s6, v4
	s_delay_alu instid0(VALU_DEP_1)
	v_add_co_ci_u32_e64 v1, null, s7, 0, s1
	s_cmp_eq_u32 s0, 0
	s_cbranch_scc1 .LBB43_2
; %bb.1:
	v_add_co_u32 v4, s1, s4, v4
	s_delay_alu instid0(VALU_DEP_1)
	v_add_co_ci_u32_e64 v5, null, s5, 0, s1
	global_load_u16 v4, v[4:5], off
	s_waitcnt vmcnt(0)
	global_store_b16 v[0:1], v4, off
.LBB43_2:
	s_cmp_lt_u32 s0, 2
	s_cbranch_scc0 .LBB43_6
; %bb.3:
	s_cmp_lt_u32 s0, 3
	s_cbranch_scc0 .LBB43_7
.LBB43_4:
	s_cmp_lt_u32 s0, 4
	s_cbranch_scc0 .LBB43_8
.LBB43_5:
	s_nop 0
	s_sendmsg sendmsg(MSG_DEALLOC_VGPRS)
	s_endpgm
.LBB43_6:
	s_waitcnt vmcnt(0)
	global_store_b16 v[0:1], v3, off offset:2
	s_cmp_lt_u32 s0, 3
	s_cbranch_scc1 .LBB43_4
.LBB43_7:
	s_waitcnt vmcnt(0)
	global_store_d16_hi_b16 v[0:1], v3, off offset:4
	s_cmp_lt_u32 s0, 4
	s_cbranch_scc1 .LBB43_5
.LBB43_8:
	s_waitcnt vmcnt(1)
	global_store_b16 v[0:1], v2, off offset:6
	s_nop 0
	s_sendmsg sendmsg(MSG_DEALLOC_VGPRS)
	s_endpgm
	.section	.rodata,"a",@progbits
	.p2align	6, 0x0
	.amdhsa_kernel _Z25warp_store_guarded_kernelILj1024ELj4ELj1ELN7rocprim17ROCPRIM_304000_NS17warp_store_methodE0E12hip_bfloat16EvPT3_S5_i
		.amdhsa_group_segment_fixed_size 0
		.amdhsa_private_segment_fixed_size 0
		.amdhsa_kernarg_size 20
		.amdhsa_user_sgpr_count 15
		.amdhsa_user_sgpr_dispatch_ptr 0
		.amdhsa_user_sgpr_queue_ptr 0
		.amdhsa_user_sgpr_kernarg_segment_ptr 1
		.amdhsa_user_sgpr_dispatch_id 0
		.amdhsa_user_sgpr_private_segment_size 0
		.amdhsa_wavefront_size32 1
		.amdhsa_uses_dynamic_stack 0
		.amdhsa_enable_private_segment 0
		.amdhsa_system_sgpr_workgroup_id_x 1
		.amdhsa_system_sgpr_workgroup_id_y 0
		.amdhsa_system_sgpr_workgroup_id_z 0
		.amdhsa_system_sgpr_workgroup_info 0
		.amdhsa_system_vgpr_workitem_id 0
		.amdhsa_next_free_vgpr 6
		.amdhsa_next_free_sgpr 8
		.amdhsa_reserve_vcc 0
		.amdhsa_float_round_mode_32 0
		.amdhsa_float_round_mode_16_64 0
		.amdhsa_float_denorm_mode_32 3
		.amdhsa_float_denorm_mode_16_64 3
		.amdhsa_dx10_clamp 1
		.amdhsa_ieee_mode 1
		.amdhsa_fp16_overflow 0
		.amdhsa_workgroup_processor_mode 1
		.amdhsa_memory_ordered 1
		.amdhsa_forward_progress 0
		.amdhsa_shared_vgpr_count 0
		.amdhsa_exception_fp_ieee_invalid_op 0
		.amdhsa_exception_fp_denorm_src 0
		.amdhsa_exception_fp_ieee_div_zero 0
		.amdhsa_exception_fp_ieee_overflow 0
		.amdhsa_exception_fp_ieee_underflow 0
		.amdhsa_exception_fp_ieee_inexact 0
		.amdhsa_exception_int_div_zero 0
	.end_amdhsa_kernel
	.section	.text._Z25warp_store_guarded_kernelILj1024ELj4ELj1ELN7rocprim17ROCPRIM_304000_NS17warp_store_methodE0E12hip_bfloat16EvPT3_S5_i,"axG",@progbits,_Z25warp_store_guarded_kernelILj1024ELj4ELj1ELN7rocprim17ROCPRIM_304000_NS17warp_store_methodE0E12hip_bfloat16EvPT3_S5_i,comdat
.Lfunc_end43:
	.size	_Z25warp_store_guarded_kernelILj1024ELj4ELj1ELN7rocprim17ROCPRIM_304000_NS17warp_store_methodE0E12hip_bfloat16EvPT3_S5_i, .Lfunc_end43-_Z25warp_store_guarded_kernelILj1024ELj4ELj1ELN7rocprim17ROCPRIM_304000_NS17warp_store_methodE0E12hip_bfloat16EvPT3_S5_i
                                        ; -- End function
	.section	.AMDGPU.csdata,"",@progbits
; Kernel info:
; codeLenInByte = 212
; NumSgprs: 8
; NumVgprs: 6
; ScratchSize: 0
; MemoryBound: 0
; FloatMode: 240
; IeeeMode: 1
; LDSByteSize: 0 bytes/workgroup (compile time only)
; SGPRBlocks: 0
; VGPRBlocks: 0
; NumSGPRsForWavesPerEU: 8
; NumVGPRsForWavesPerEU: 6
; Occupancy: 16
; WaveLimiterHint : 0
; COMPUTE_PGM_RSRC2:SCRATCH_EN: 0
; COMPUTE_PGM_RSRC2:USER_SGPR: 15
; COMPUTE_PGM_RSRC2:TRAP_HANDLER: 0
; COMPUTE_PGM_RSRC2:TGID_X_EN: 1
; COMPUTE_PGM_RSRC2:TGID_Y_EN: 0
; COMPUTE_PGM_RSRC2:TGID_Z_EN: 0
; COMPUTE_PGM_RSRC2:TIDIG_COMP_CNT: 0
	.section	.text._Z25warp_store_guarded_kernelILj1024ELj4ELj1ELN7rocprim17ROCPRIM_304000_NS17warp_store_methodE3EdEvPT3_S4_i,"axG",@progbits,_Z25warp_store_guarded_kernelILj1024ELj4ELj1ELN7rocprim17ROCPRIM_304000_NS17warp_store_methodE3EdEvPT3_S4_i,comdat
	.protected	_Z25warp_store_guarded_kernelILj1024ELj4ELj1ELN7rocprim17ROCPRIM_304000_NS17warp_store_methodE3EdEvPT3_S4_i ; -- Begin function _Z25warp_store_guarded_kernelILj1024ELj4ELj1ELN7rocprim17ROCPRIM_304000_NS17warp_store_methodE3EdEvPT3_S4_i
	.globl	_Z25warp_store_guarded_kernelILj1024ELj4ELj1ELN7rocprim17ROCPRIM_304000_NS17warp_store_methodE3EdEvPT3_S4_i
	.p2align	8
	.type	_Z25warp_store_guarded_kernelILj1024ELj4ELj1ELN7rocprim17ROCPRIM_304000_NS17warp_store_methodE3EdEvPT3_S4_i,@function
_Z25warp_store_guarded_kernelILj1024ELj4ELj1ELN7rocprim17ROCPRIM_304000_NS17warp_store_methodE3EdEvPT3_S4_i: ; @_Z25warp_store_guarded_kernelILj1024ELj4ELj1ELN7rocprim17ROCPRIM_304000_NS17warp_store_methodE3EdEvPT3_S4_i
; %bb.0:
	s_load_b128 s[4:7], s[0:1], 0x0
	v_lshlrev_b32_e32 v6, 5, v0
	s_load_b32 s0, s[0:1], 0x10
	s_waitcnt lgkmcnt(0)
	s_clause 0x1
	global_load_b128 v[0:3], v6, s[4:5]
	global_load_b128 v[7:10], v6, s[4:5] offset:16
	v_add_co_u32 v4, s1, s6, v6
	s_delay_alu instid0(VALU_DEP_1)
	v_add_co_ci_u32_e64 v5, null, s7, 0, s1
	s_cmp_eq_u32 s0, 0
	s_waitcnt vmcnt(1)
	ds_store_b128 v6, v[0:3]
	s_waitcnt vmcnt(0)
	ds_store_b128 v6, v[7:10] offset:16
	; wave barrier
	s_cbranch_scc1 .LBB44_2
; %bb.1:
	ds_load_b64 v[0:1], v6
	s_waitcnt lgkmcnt(0)
	global_store_b64 v[4:5], v[0:1], off
.LBB44_2:
	ds_load_2addr_b64 v[0:3], v6 offset0:1 offset1:2
	s_cmp_lt_u32 s0, 2
	s_cbranch_scc0 .LBB44_6
; %bb.3:
	s_cmp_lt_u32 s0, 3
	s_cbranch_scc0 .LBB44_7
.LBB44_4:
	s_cmp_lt_u32 s0, 4
	s_cbranch_scc0 .LBB44_8
.LBB44_5:
	s_nop 0
	s_sendmsg sendmsg(MSG_DEALLOC_VGPRS)
	s_endpgm
.LBB44_6:
	s_waitcnt lgkmcnt(0)
	global_store_b64 v[4:5], v[0:1], off offset:8
	s_cmp_lt_u32 s0, 3
	s_cbranch_scc1 .LBB44_4
.LBB44_7:
	s_waitcnt lgkmcnt(0)
	global_store_b64 v[4:5], v[2:3], off offset:16
	s_cmp_lt_u32 s0, 4
	s_cbranch_scc1 .LBB44_5
.LBB44_8:
	s_waitcnt lgkmcnt(0)
	ds_load_b64 v[0:1], v6 offset:24
	s_waitcnt lgkmcnt(0)
	global_store_b64 v[4:5], v[0:1], off offset:24
	s_nop 0
	s_sendmsg sendmsg(MSG_DEALLOC_VGPRS)
	s_endpgm
	.section	.rodata,"a",@progbits
	.p2align	6, 0x0
	.amdhsa_kernel _Z25warp_store_guarded_kernelILj1024ELj4ELj1ELN7rocprim17ROCPRIM_304000_NS17warp_store_methodE3EdEvPT3_S4_i
		.amdhsa_group_segment_fixed_size 32768
		.amdhsa_private_segment_fixed_size 0
		.amdhsa_kernarg_size 20
		.amdhsa_user_sgpr_count 15
		.amdhsa_user_sgpr_dispatch_ptr 0
		.amdhsa_user_sgpr_queue_ptr 0
		.amdhsa_user_sgpr_kernarg_segment_ptr 1
		.amdhsa_user_sgpr_dispatch_id 0
		.amdhsa_user_sgpr_private_segment_size 0
		.amdhsa_wavefront_size32 1
		.amdhsa_uses_dynamic_stack 0
		.amdhsa_enable_private_segment 0
		.amdhsa_system_sgpr_workgroup_id_x 1
		.amdhsa_system_sgpr_workgroup_id_y 0
		.amdhsa_system_sgpr_workgroup_id_z 0
		.amdhsa_system_sgpr_workgroup_info 0
		.amdhsa_system_vgpr_workitem_id 0
		.amdhsa_next_free_vgpr 11
		.amdhsa_next_free_sgpr 8
		.amdhsa_reserve_vcc 0
		.amdhsa_float_round_mode_32 0
		.amdhsa_float_round_mode_16_64 0
		.amdhsa_float_denorm_mode_32 3
		.amdhsa_float_denorm_mode_16_64 3
		.amdhsa_dx10_clamp 1
		.amdhsa_ieee_mode 1
		.amdhsa_fp16_overflow 0
		.amdhsa_workgroup_processor_mode 1
		.amdhsa_memory_ordered 1
		.amdhsa_forward_progress 0
		.amdhsa_shared_vgpr_count 0
		.amdhsa_exception_fp_ieee_invalid_op 0
		.amdhsa_exception_fp_denorm_src 0
		.amdhsa_exception_fp_ieee_div_zero 0
		.amdhsa_exception_fp_ieee_overflow 0
		.amdhsa_exception_fp_ieee_underflow 0
		.amdhsa_exception_fp_ieee_inexact 0
		.amdhsa_exception_int_div_zero 0
	.end_amdhsa_kernel
	.section	.text._Z25warp_store_guarded_kernelILj1024ELj4ELj1ELN7rocprim17ROCPRIM_304000_NS17warp_store_methodE3EdEvPT3_S4_i,"axG",@progbits,_Z25warp_store_guarded_kernelILj1024ELj4ELj1ELN7rocprim17ROCPRIM_304000_NS17warp_store_methodE3EdEvPT3_S4_i,comdat
.Lfunc_end44:
	.size	_Z25warp_store_guarded_kernelILj1024ELj4ELj1ELN7rocprim17ROCPRIM_304000_NS17warp_store_methodE3EdEvPT3_S4_i, .Lfunc_end44-_Z25warp_store_guarded_kernelILj1024ELj4ELj1ELN7rocprim17ROCPRIM_304000_NS17warp_store_methodE3EdEvPT3_S4_i
                                        ; -- End function
	.section	.AMDGPU.csdata,"",@progbits
; Kernel info:
; codeLenInByte = 236
; NumSgprs: 8
; NumVgprs: 11
; ScratchSize: 0
; MemoryBound: 1
; FloatMode: 240
; IeeeMode: 1
; LDSByteSize: 32768 bytes/workgroup (compile time only)
; SGPRBlocks: 0
; VGPRBlocks: 1
; NumSGPRsForWavesPerEU: 8
; NumVGPRsForWavesPerEU: 11
; Occupancy: 16
; WaveLimiterHint : 1
; COMPUTE_PGM_RSRC2:SCRATCH_EN: 0
; COMPUTE_PGM_RSRC2:USER_SGPR: 15
; COMPUTE_PGM_RSRC2:TRAP_HANDLER: 0
; COMPUTE_PGM_RSRC2:TGID_X_EN: 1
; COMPUTE_PGM_RSRC2:TGID_Y_EN: 0
; COMPUTE_PGM_RSRC2:TGID_Z_EN: 0
; COMPUTE_PGM_RSRC2:TIDIG_COMP_CNT: 0
	.section	.text._Z25warp_store_guarded_kernelILj1024ELj4ELj1ELN7rocprim17ROCPRIM_304000_NS17warp_store_methodE2EdEvPT3_S4_i,"axG",@progbits,_Z25warp_store_guarded_kernelILj1024ELj4ELj1ELN7rocprim17ROCPRIM_304000_NS17warp_store_methodE2EdEvPT3_S4_i,comdat
	.protected	_Z25warp_store_guarded_kernelILj1024ELj4ELj1ELN7rocprim17ROCPRIM_304000_NS17warp_store_methodE2EdEvPT3_S4_i ; -- Begin function _Z25warp_store_guarded_kernelILj1024ELj4ELj1ELN7rocprim17ROCPRIM_304000_NS17warp_store_methodE2EdEvPT3_S4_i
	.globl	_Z25warp_store_guarded_kernelILj1024ELj4ELj1ELN7rocprim17ROCPRIM_304000_NS17warp_store_methodE2EdEvPT3_S4_i
	.p2align	8
	.type	_Z25warp_store_guarded_kernelILj1024ELj4ELj1ELN7rocprim17ROCPRIM_304000_NS17warp_store_methodE2EdEvPT3_S4_i,@function
_Z25warp_store_guarded_kernelILj1024ELj4ELj1ELN7rocprim17ROCPRIM_304000_NS17warp_store_methodE2EdEvPT3_S4_i: ; @_Z25warp_store_guarded_kernelILj1024ELj4ELj1ELN7rocprim17ROCPRIM_304000_NS17warp_store_methodE2EdEvPT3_S4_i
; %bb.0:
	s_load_b128 s[4:7], s[0:1], 0x0
	v_lshlrev_b32_e32 v8, 5, v0
	s_load_b32 s0, s[0:1], 0x10
	s_waitcnt lgkmcnt(0)
	s_clause 0x1
	global_load_b64 v[4:5], v8, s[4:5] offset:24
	global_load_b128 v[0:3], v8, s[4:5] offset:8
	v_add_co_u32 v6, s1, s6, v8
	s_delay_alu instid0(VALU_DEP_1)
	v_add_co_ci_u32_e64 v7, null, s7, 0, s1
	s_cmp_eq_u32 s0, 0
	s_cbranch_scc1 .LBB45_2
; %bb.1:
	v_add_co_u32 v8, s1, s4, v8
	s_delay_alu instid0(VALU_DEP_1)
	v_add_co_ci_u32_e64 v9, null, s5, 0, s1
	global_load_b64 v[8:9], v[8:9], off
	s_waitcnt vmcnt(0)
	global_store_b64 v[6:7], v[8:9], off
.LBB45_2:
	s_cmp_lt_u32 s0, 2
	s_cbranch_scc0 .LBB45_6
; %bb.3:
	s_cmp_lt_u32 s0, 3
	s_cbranch_scc0 .LBB45_7
.LBB45_4:
	s_cmp_lt_u32 s0, 4
	s_cbranch_scc0 .LBB45_8
.LBB45_5:
	s_nop 0
	s_sendmsg sendmsg(MSG_DEALLOC_VGPRS)
	s_endpgm
.LBB45_6:
	s_waitcnt vmcnt(0)
	global_store_b64 v[6:7], v[0:1], off offset:8
	s_cmp_lt_u32 s0, 3
	s_cbranch_scc1 .LBB45_4
.LBB45_7:
	s_waitcnt vmcnt(0)
	global_store_b64 v[6:7], v[2:3], off offset:16
	s_cmp_lt_u32 s0, 4
	s_cbranch_scc1 .LBB45_5
.LBB45_8:
	s_waitcnt vmcnt(1)
	global_store_b64 v[6:7], v[4:5], off offset:24
	s_nop 0
	s_sendmsg sendmsg(MSG_DEALLOC_VGPRS)
	s_endpgm
	.section	.rodata,"a",@progbits
	.p2align	6, 0x0
	.amdhsa_kernel _Z25warp_store_guarded_kernelILj1024ELj4ELj1ELN7rocprim17ROCPRIM_304000_NS17warp_store_methodE2EdEvPT3_S4_i
		.amdhsa_group_segment_fixed_size 0
		.amdhsa_private_segment_fixed_size 0
		.amdhsa_kernarg_size 20
		.amdhsa_user_sgpr_count 15
		.amdhsa_user_sgpr_dispatch_ptr 0
		.amdhsa_user_sgpr_queue_ptr 0
		.amdhsa_user_sgpr_kernarg_segment_ptr 1
		.amdhsa_user_sgpr_dispatch_id 0
		.amdhsa_user_sgpr_private_segment_size 0
		.amdhsa_wavefront_size32 1
		.amdhsa_uses_dynamic_stack 0
		.amdhsa_enable_private_segment 0
		.amdhsa_system_sgpr_workgroup_id_x 1
		.amdhsa_system_sgpr_workgroup_id_y 0
		.amdhsa_system_sgpr_workgroup_id_z 0
		.amdhsa_system_sgpr_workgroup_info 0
		.amdhsa_system_vgpr_workitem_id 0
		.amdhsa_next_free_vgpr 10
		.amdhsa_next_free_sgpr 8
		.amdhsa_reserve_vcc 0
		.amdhsa_float_round_mode_32 0
		.amdhsa_float_round_mode_16_64 0
		.amdhsa_float_denorm_mode_32 3
		.amdhsa_float_denorm_mode_16_64 3
		.amdhsa_dx10_clamp 1
		.amdhsa_ieee_mode 1
		.amdhsa_fp16_overflow 0
		.amdhsa_workgroup_processor_mode 1
		.amdhsa_memory_ordered 1
		.amdhsa_forward_progress 0
		.amdhsa_shared_vgpr_count 0
		.amdhsa_exception_fp_ieee_invalid_op 0
		.amdhsa_exception_fp_denorm_src 0
		.amdhsa_exception_fp_ieee_div_zero 0
		.amdhsa_exception_fp_ieee_overflow 0
		.amdhsa_exception_fp_ieee_underflow 0
		.amdhsa_exception_fp_ieee_inexact 0
		.amdhsa_exception_int_div_zero 0
	.end_amdhsa_kernel
	.section	.text._Z25warp_store_guarded_kernelILj1024ELj4ELj1ELN7rocprim17ROCPRIM_304000_NS17warp_store_methodE2EdEvPT3_S4_i,"axG",@progbits,_Z25warp_store_guarded_kernelILj1024ELj4ELj1ELN7rocprim17ROCPRIM_304000_NS17warp_store_methodE2EdEvPT3_S4_i,comdat
.Lfunc_end45:
	.size	_Z25warp_store_guarded_kernelILj1024ELj4ELj1ELN7rocprim17ROCPRIM_304000_NS17warp_store_methodE2EdEvPT3_S4_i, .Lfunc_end45-_Z25warp_store_guarded_kernelILj1024ELj4ELj1ELN7rocprim17ROCPRIM_304000_NS17warp_store_methodE2EdEvPT3_S4_i
                                        ; -- End function
	.section	.AMDGPU.csdata,"",@progbits
; Kernel info:
; codeLenInByte = 212
; NumSgprs: 8
; NumVgprs: 10
; ScratchSize: 0
; MemoryBound: 1
; FloatMode: 240
; IeeeMode: 1
; LDSByteSize: 0 bytes/workgroup (compile time only)
; SGPRBlocks: 0
; VGPRBlocks: 1
; NumSGPRsForWavesPerEU: 8
; NumVGPRsForWavesPerEU: 10
; Occupancy: 16
; WaveLimiterHint : 0
; COMPUTE_PGM_RSRC2:SCRATCH_EN: 0
; COMPUTE_PGM_RSRC2:USER_SGPR: 15
; COMPUTE_PGM_RSRC2:TRAP_HANDLER: 0
; COMPUTE_PGM_RSRC2:TGID_X_EN: 1
; COMPUTE_PGM_RSRC2:TGID_Y_EN: 0
; COMPUTE_PGM_RSRC2:TGID_Z_EN: 0
; COMPUTE_PGM_RSRC2:TIDIG_COMP_CNT: 0
	.section	.text._Z25warp_store_guarded_kernelILj1024ELj4ELj1ELN7rocprim17ROCPRIM_304000_NS17warp_store_methodE1EdEvPT3_S4_i,"axG",@progbits,_Z25warp_store_guarded_kernelILj1024ELj4ELj1ELN7rocprim17ROCPRIM_304000_NS17warp_store_methodE1EdEvPT3_S4_i,comdat
	.protected	_Z25warp_store_guarded_kernelILj1024ELj4ELj1ELN7rocprim17ROCPRIM_304000_NS17warp_store_methodE1EdEvPT3_S4_i ; -- Begin function _Z25warp_store_guarded_kernelILj1024ELj4ELj1ELN7rocprim17ROCPRIM_304000_NS17warp_store_methodE1EdEvPT3_S4_i
	.globl	_Z25warp_store_guarded_kernelILj1024ELj4ELj1ELN7rocprim17ROCPRIM_304000_NS17warp_store_methodE1EdEvPT3_S4_i
	.p2align	8
	.type	_Z25warp_store_guarded_kernelILj1024ELj4ELj1ELN7rocprim17ROCPRIM_304000_NS17warp_store_methodE1EdEvPT3_S4_i,@function
_Z25warp_store_guarded_kernelILj1024ELj4ELj1ELN7rocprim17ROCPRIM_304000_NS17warp_store_methodE1EdEvPT3_S4_i: ; @_Z25warp_store_guarded_kernelILj1024ELj4ELj1ELN7rocprim17ROCPRIM_304000_NS17warp_store_methodE1EdEvPT3_S4_i
; %bb.0:
	s_load_b128 s[4:7], s[0:1], 0x0
	v_lshlrev_b32_e32 v8, 5, v0
	s_load_b32 s0, s[0:1], 0x10
	s_waitcnt lgkmcnt(0)
	s_clause 0x1
	global_load_b64 v[4:5], v8, s[4:5] offset:24
	global_load_b128 v[0:3], v8, s[4:5] offset:8
	v_add_co_u32 v6, s1, s6, v8
	s_delay_alu instid0(VALU_DEP_1)
	v_add_co_ci_u32_e64 v7, null, s7, 0, s1
	s_cmp_eq_u32 s0, 0
	s_cbranch_scc1 .LBB46_2
; %bb.1:
	v_add_co_u32 v8, s1, s4, v8
	s_delay_alu instid0(VALU_DEP_1)
	v_add_co_ci_u32_e64 v9, null, s5, 0, s1
	global_load_b64 v[8:9], v[8:9], off
	s_waitcnt vmcnt(0)
	global_store_b64 v[6:7], v[8:9], off
.LBB46_2:
	s_cmp_lt_u32 s0, 2
	s_cbranch_scc0 .LBB46_6
; %bb.3:
	s_cmp_lt_u32 s0, 3
	s_cbranch_scc0 .LBB46_7
.LBB46_4:
	s_cmp_lt_u32 s0, 4
	s_cbranch_scc0 .LBB46_8
.LBB46_5:
	s_nop 0
	s_sendmsg sendmsg(MSG_DEALLOC_VGPRS)
	s_endpgm
.LBB46_6:
	s_waitcnt vmcnt(0)
	global_store_b64 v[6:7], v[0:1], off offset:8
	s_cmp_lt_u32 s0, 3
	s_cbranch_scc1 .LBB46_4
.LBB46_7:
	s_waitcnt vmcnt(0)
	global_store_b64 v[6:7], v[2:3], off offset:16
	s_cmp_lt_u32 s0, 4
	s_cbranch_scc1 .LBB46_5
.LBB46_8:
	s_waitcnt vmcnt(1)
	global_store_b64 v[6:7], v[4:5], off offset:24
	s_nop 0
	s_sendmsg sendmsg(MSG_DEALLOC_VGPRS)
	s_endpgm
	.section	.rodata,"a",@progbits
	.p2align	6, 0x0
	.amdhsa_kernel _Z25warp_store_guarded_kernelILj1024ELj4ELj1ELN7rocprim17ROCPRIM_304000_NS17warp_store_methodE1EdEvPT3_S4_i
		.amdhsa_group_segment_fixed_size 0
		.amdhsa_private_segment_fixed_size 0
		.amdhsa_kernarg_size 20
		.amdhsa_user_sgpr_count 15
		.amdhsa_user_sgpr_dispatch_ptr 0
		.amdhsa_user_sgpr_queue_ptr 0
		.amdhsa_user_sgpr_kernarg_segment_ptr 1
		.amdhsa_user_sgpr_dispatch_id 0
		.amdhsa_user_sgpr_private_segment_size 0
		.amdhsa_wavefront_size32 1
		.amdhsa_uses_dynamic_stack 0
		.amdhsa_enable_private_segment 0
		.amdhsa_system_sgpr_workgroup_id_x 1
		.amdhsa_system_sgpr_workgroup_id_y 0
		.amdhsa_system_sgpr_workgroup_id_z 0
		.amdhsa_system_sgpr_workgroup_info 0
		.amdhsa_system_vgpr_workitem_id 0
		.amdhsa_next_free_vgpr 10
		.amdhsa_next_free_sgpr 8
		.amdhsa_reserve_vcc 0
		.amdhsa_float_round_mode_32 0
		.amdhsa_float_round_mode_16_64 0
		.amdhsa_float_denorm_mode_32 3
		.amdhsa_float_denorm_mode_16_64 3
		.amdhsa_dx10_clamp 1
		.amdhsa_ieee_mode 1
		.amdhsa_fp16_overflow 0
		.amdhsa_workgroup_processor_mode 1
		.amdhsa_memory_ordered 1
		.amdhsa_forward_progress 0
		.amdhsa_shared_vgpr_count 0
		.amdhsa_exception_fp_ieee_invalid_op 0
		.amdhsa_exception_fp_denorm_src 0
		.amdhsa_exception_fp_ieee_div_zero 0
		.amdhsa_exception_fp_ieee_overflow 0
		.amdhsa_exception_fp_ieee_underflow 0
		.amdhsa_exception_fp_ieee_inexact 0
		.amdhsa_exception_int_div_zero 0
	.end_amdhsa_kernel
	.section	.text._Z25warp_store_guarded_kernelILj1024ELj4ELj1ELN7rocprim17ROCPRIM_304000_NS17warp_store_methodE1EdEvPT3_S4_i,"axG",@progbits,_Z25warp_store_guarded_kernelILj1024ELj4ELj1ELN7rocprim17ROCPRIM_304000_NS17warp_store_methodE1EdEvPT3_S4_i,comdat
.Lfunc_end46:
	.size	_Z25warp_store_guarded_kernelILj1024ELj4ELj1ELN7rocprim17ROCPRIM_304000_NS17warp_store_methodE1EdEvPT3_S4_i, .Lfunc_end46-_Z25warp_store_guarded_kernelILj1024ELj4ELj1ELN7rocprim17ROCPRIM_304000_NS17warp_store_methodE1EdEvPT3_S4_i
                                        ; -- End function
	.section	.AMDGPU.csdata,"",@progbits
; Kernel info:
; codeLenInByte = 212
; NumSgprs: 8
; NumVgprs: 10
; ScratchSize: 0
; MemoryBound: 1
; FloatMode: 240
; IeeeMode: 1
; LDSByteSize: 0 bytes/workgroup (compile time only)
; SGPRBlocks: 0
; VGPRBlocks: 1
; NumSGPRsForWavesPerEU: 8
; NumVGPRsForWavesPerEU: 10
; Occupancy: 16
; WaveLimiterHint : 0
; COMPUTE_PGM_RSRC2:SCRATCH_EN: 0
; COMPUTE_PGM_RSRC2:USER_SGPR: 15
; COMPUTE_PGM_RSRC2:TRAP_HANDLER: 0
; COMPUTE_PGM_RSRC2:TGID_X_EN: 1
; COMPUTE_PGM_RSRC2:TGID_Y_EN: 0
; COMPUTE_PGM_RSRC2:TGID_Z_EN: 0
; COMPUTE_PGM_RSRC2:TIDIG_COMP_CNT: 0
	.section	.text._Z25warp_store_guarded_kernelILj1024ELj4ELj1ELN7rocprim17ROCPRIM_304000_NS17warp_store_methodE0EdEvPT3_S4_i,"axG",@progbits,_Z25warp_store_guarded_kernelILj1024ELj4ELj1ELN7rocprim17ROCPRIM_304000_NS17warp_store_methodE0EdEvPT3_S4_i,comdat
	.protected	_Z25warp_store_guarded_kernelILj1024ELj4ELj1ELN7rocprim17ROCPRIM_304000_NS17warp_store_methodE0EdEvPT3_S4_i ; -- Begin function _Z25warp_store_guarded_kernelILj1024ELj4ELj1ELN7rocprim17ROCPRIM_304000_NS17warp_store_methodE0EdEvPT3_S4_i
	.globl	_Z25warp_store_guarded_kernelILj1024ELj4ELj1ELN7rocprim17ROCPRIM_304000_NS17warp_store_methodE0EdEvPT3_S4_i
	.p2align	8
	.type	_Z25warp_store_guarded_kernelILj1024ELj4ELj1ELN7rocprim17ROCPRIM_304000_NS17warp_store_methodE0EdEvPT3_S4_i,@function
_Z25warp_store_guarded_kernelILj1024ELj4ELj1ELN7rocprim17ROCPRIM_304000_NS17warp_store_methodE0EdEvPT3_S4_i: ; @_Z25warp_store_guarded_kernelILj1024ELj4ELj1ELN7rocprim17ROCPRIM_304000_NS17warp_store_methodE0EdEvPT3_S4_i
; %bb.0:
	s_load_b128 s[4:7], s[0:1], 0x0
	v_lshlrev_b32_e32 v8, 5, v0
	s_load_b32 s0, s[0:1], 0x10
	s_waitcnt lgkmcnt(0)
	s_clause 0x1
	global_load_b64 v[4:5], v8, s[4:5] offset:24
	global_load_b128 v[0:3], v8, s[4:5] offset:8
	v_add_co_u32 v6, s1, s6, v8
	s_delay_alu instid0(VALU_DEP_1)
	v_add_co_ci_u32_e64 v7, null, s7, 0, s1
	s_cmp_eq_u32 s0, 0
	s_cbranch_scc1 .LBB47_2
; %bb.1:
	v_add_co_u32 v8, s1, s4, v8
	s_delay_alu instid0(VALU_DEP_1)
	v_add_co_ci_u32_e64 v9, null, s5, 0, s1
	global_load_b64 v[8:9], v[8:9], off
	s_waitcnt vmcnt(0)
	global_store_b64 v[6:7], v[8:9], off
.LBB47_2:
	s_cmp_lt_u32 s0, 2
	s_cbranch_scc0 .LBB47_6
; %bb.3:
	s_cmp_lt_u32 s0, 3
	s_cbranch_scc0 .LBB47_7
.LBB47_4:
	s_cmp_lt_u32 s0, 4
	s_cbranch_scc0 .LBB47_8
.LBB47_5:
	s_nop 0
	s_sendmsg sendmsg(MSG_DEALLOC_VGPRS)
	s_endpgm
.LBB47_6:
	s_waitcnt vmcnt(0)
	global_store_b64 v[6:7], v[0:1], off offset:8
	s_cmp_lt_u32 s0, 3
	s_cbranch_scc1 .LBB47_4
.LBB47_7:
	s_waitcnt vmcnt(0)
	global_store_b64 v[6:7], v[2:3], off offset:16
	s_cmp_lt_u32 s0, 4
	s_cbranch_scc1 .LBB47_5
.LBB47_8:
	s_waitcnt vmcnt(1)
	global_store_b64 v[6:7], v[4:5], off offset:24
	s_nop 0
	s_sendmsg sendmsg(MSG_DEALLOC_VGPRS)
	s_endpgm
	.section	.rodata,"a",@progbits
	.p2align	6, 0x0
	.amdhsa_kernel _Z25warp_store_guarded_kernelILj1024ELj4ELj1ELN7rocprim17ROCPRIM_304000_NS17warp_store_methodE0EdEvPT3_S4_i
		.amdhsa_group_segment_fixed_size 0
		.amdhsa_private_segment_fixed_size 0
		.amdhsa_kernarg_size 20
		.amdhsa_user_sgpr_count 15
		.amdhsa_user_sgpr_dispatch_ptr 0
		.amdhsa_user_sgpr_queue_ptr 0
		.amdhsa_user_sgpr_kernarg_segment_ptr 1
		.amdhsa_user_sgpr_dispatch_id 0
		.amdhsa_user_sgpr_private_segment_size 0
		.amdhsa_wavefront_size32 1
		.amdhsa_uses_dynamic_stack 0
		.amdhsa_enable_private_segment 0
		.amdhsa_system_sgpr_workgroup_id_x 1
		.amdhsa_system_sgpr_workgroup_id_y 0
		.amdhsa_system_sgpr_workgroup_id_z 0
		.amdhsa_system_sgpr_workgroup_info 0
		.amdhsa_system_vgpr_workitem_id 0
		.amdhsa_next_free_vgpr 10
		.amdhsa_next_free_sgpr 8
		.amdhsa_reserve_vcc 0
		.amdhsa_float_round_mode_32 0
		.amdhsa_float_round_mode_16_64 0
		.amdhsa_float_denorm_mode_32 3
		.amdhsa_float_denorm_mode_16_64 3
		.amdhsa_dx10_clamp 1
		.amdhsa_ieee_mode 1
		.amdhsa_fp16_overflow 0
		.amdhsa_workgroup_processor_mode 1
		.amdhsa_memory_ordered 1
		.amdhsa_forward_progress 0
		.amdhsa_shared_vgpr_count 0
		.amdhsa_exception_fp_ieee_invalid_op 0
		.amdhsa_exception_fp_denorm_src 0
		.amdhsa_exception_fp_ieee_div_zero 0
		.amdhsa_exception_fp_ieee_overflow 0
		.amdhsa_exception_fp_ieee_underflow 0
		.amdhsa_exception_fp_ieee_inexact 0
		.amdhsa_exception_int_div_zero 0
	.end_amdhsa_kernel
	.section	.text._Z25warp_store_guarded_kernelILj1024ELj4ELj1ELN7rocprim17ROCPRIM_304000_NS17warp_store_methodE0EdEvPT3_S4_i,"axG",@progbits,_Z25warp_store_guarded_kernelILj1024ELj4ELj1ELN7rocprim17ROCPRIM_304000_NS17warp_store_methodE0EdEvPT3_S4_i,comdat
.Lfunc_end47:
	.size	_Z25warp_store_guarded_kernelILj1024ELj4ELj1ELN7rocprim17ROCPRIM_304000_NS17warp_store_methodE0EdEvPT3_S4_i, .Lfunc_end47-_Z25warp_store_guarded_kernelILj1024ELj4ELj1ELN7rocprim17ROCPRIM_304000_NS17warp_store_methodE0EdEvPT3_S4_i
                                        ; -- End function
	.section	.AMDGPU.csdata,"",@progbits
; Kernel info:
; codeLenInByte = 212
; NumSgprs: 8
; NumVgprs: 10
; ScratchSize: 0
; MemoryBound: 1
; FloatMode: 240
; IeeeMode: 1
; LDSByteSize: 0 bytes/workgroup (compile time only)
; SGPRBlocks: 0
; VGPRBlocks: 1
; NumSGPRsForWavesPerEU: 8
; NumVGPRsForWavesPerEU: 10
; Occupancy: 16
; WaveLimiterHint : 0
; COMPUTE_PGM_RSRC2:SCRATCH_EN: 0
; COMPUTE_PGM_RSRC2:USER_SGPR: 15
; COMPUTE_PGM_RSRC2:TRAP_HANDLER: 0
; COMPUTE_PGM_RSRC2:TGID_X_EN: 1
; COMPUTE_PGM_RSRC2:TGID_Y_EN: 0
; COMPUTE_PGM_RSRC2:TGID_Z_EN: 0
; COMPUTE_PGM_RSRC2:TIDIG_COMP_CNT: 0
	.section	.text._Z25warp_store_guarded_kernelILj1024ELj4ELj1ELN7rocprim17ROCPRIM_304000_NS17warp_store_methodE3EfEvPT3_S4_i,"axG",@progbits,_Z25warp_store_guarded_kernelILj1024ELj4ELj1ELN7rocprim17ROCPRIM_304000_NS17warp_store_methodE3EfEvPT3_S4_i,comdat
	.protected	_Z25warp_store_guarded_kernelILj1024ELj4ELj1ELN7rocprim17ROCPRIM_304000_NS17warp_store_methodE3EfEvPT3_S4_i ; -- Begin function _Z25warp_store_guarded_kernelILj1024ELj4ELj1ELN7rocprim17ROCPRIM_304000_NS17warp_store_methodE3EfEvPT3_S4_i
	.globl	_Z25warp_store_guarded_kernelILj1024ELj4ELj1ELN7rocprim17ROCPRIM_304000_NS17warp_store_methodE3EfEvPT3_S4_i
	.p2align	8
	.type	_Z25warp_store_guarded_kernelILj1024ELj4ELj1ELN7rocprim17ROCPRIM_304000_NS17warp_store_methodE3EfEvPT3_S4_i,@function
_Z25warp_store_guarded_kernelILj1024ELj4ELj1ELN7rocprim17ROCPRIM_304000_NS17warp_store_methodE3EfEvPT3_S4_i: ; @_Z25warp_store_guarded_kernelILj1024ELj4ELj1ELN7rocprim17ROCPRIM_304000_NS17warp_store_methodE3EfEvPT3_S4_i
; %bb.0:
	s_load_b128 s[4:7], s[0:1], 0x0
	v_lshlrev_b32_e32 v4, 4, v0
	s_load_b32 s0, s[0:1], 0x10
	s_waitcnt lgkmcnt(0)
	global_load_b128 v[5:8], v4, s[4:5]
	v_add_co_u32 v0, s1, s6, v4
	s_delay_alu instid0(VALU_DEP_1)
	v_add_co_ci_u32_e64 v1, null, s7, 0, s1
	s_cmp_eq_u32 s0, 0
	s_waitcnt vmcnt(0)
	ds_store_b128 v4, v[5:8]
	; wave barrier
	s_cbranch_scc1 .LBB48_2
; %bb.1:
	ds_load_b32 v2, v4
	s_waitcnt lgkmcnt(0)
	global_store_b32 v[0:1], v2, off
.LBB48_2:
	ds_load_2addr_b32 v[2:3], v4 offset0:1 offset1:2
	s_cmp_lt_u32 s0, 2
	s_cbranch_scc0 .LBB48_6
; %bb.3:
	s_cmp_lt_u32 s0, 3
	s_cbranch_scc0 .LBB48_7
.LBB48_4:
	s_cmp_lt_u32 s0, 4
	s_cbranch_scc0 .LBB48_8
.LBB48_5:
	s_nop 0
	s_sendmsg sendmsg(MSG_DEALLOC_VGPRS)
	s_endpgm
.LBB48_6:
	s_waitcnt lgkmcnt(0)
	global_store_b32 v[0:1], v2, off offset:4
	s_cmp_lt_u32 s0, 3
	s_cbranch_scc1 .LBB48_4
.LBB48_7:
	s_waitcnt lgkmcnt(0)
	global_store_b32 v[0:1], v3, off offset:8
	s_cmp_lt_u32 s0, 4
	s_cbranch_scc1 .LBB48_5
.LBB48_8:
	s_waitcnt lgkmcnt(0)
	ds_load_b32 v2, v4 offset:12
	s_waitcnt lgkmcnt(0)
	global_store_b32 v[0:1], v2, off offset:12
	s_nop 0
	s_sendmsg sendmsg(MSG_DEALLOC_VGPRS)
	s_endpgm
	.section	.rodata,"a",@progbits
	.p2align	6, 0x0
	.amdhsa_kernel _Z25warp_store_guarded_kernelILj1024ELj4ELj1ELN7rocprim17ROCPRIM_304000_NS17warp_store_methodE3EfEvPT3_S4_i
		.amdhsa_group_segment_fixed_size 16384
		.amdhsa_private_segment_fixed_size 0
		.amdhsa_kernarg_size 20
		.amdhsa_user_sgpr_count 15
		.amdhsa_user_sgpr_dispatch_ptr 0
		.amdhsa_user_sgpr_queue_ptr 0
		.amdhsa_user_sgpr_kernarg_segment_ptr 1
		.amdhsa_user_sgpr_dispatch_id 0
		.amdhsa_user_sgpr_private_segment_size 0
		.amdhsa_wavefront_size32 1
		.amdhsa_uses_dynamic_stack 0
		.amdhsa_enable_private_segment 0
		.amdhsa_system_sgpr_workgroup_id_x 1
		.amdhsa_system_sgpr_workgroup_id_y 0
		.amdhsa_system_sgpr_workgroup_id_z 0
		.amdhsa_system_sgpr_workgroup_info 0
		.amdhsa_system_vgpr_workitem_id 0
		.amdhsa_next_free_vgpr 9
		.amdhsa_next_free_sgpr 8
		.amdhsa_reserve_vcc 0
		.amdhsa_float_round_mode_32 0
		.amdhsa_float_round_mode_16_64 0
		.amdhsa_float_denorm_mode_32 3
		.amdhsa_float_denorm_mode_16_64 3
		.amdhsa_dx10_clamp 1
		.amdhsa_ieee_mode 1
		.amdhsa_fp16_overflow 0
		.amdhsa_workgroup_processor_mode 1
		.amdhsa_memory_ordered 1
		.amdhsa_forward_progress 0
		.amdhsa_shared_vgpr_count 0
		.amdhsa_exception_fp_ieee_invalid_op 0
		.amdhsa_exception_fp_denorm_src 0
		.amdhsa_exception_fp_ieee_div_zero 0
		.amdhsa_exception_fp_ieee_overflow 0
		.amdhsa_exception_fp_ieee_underflow 0
		.amdhsa_exception_fp_ieee_inexact 0
		.amdhsa_exception_int_div_zero 0
	.end_amdhsa_kernel
	.section	.text._Z25warp_store_guarded_kernelILj1024ELj4ELj1ELN7rocprim17ROCPRIM_304000_NS17warp_store_methodE3EfEvPT3_S4_i,"axG",@progbits,_Z25warp_store_guarded_kernelILj1024ELj4ELj1ELN7rocprim17ROCPRIM_304000_NS17warp_store_methodE3EfEvPT3_S4_i,comdat
.Lfunc_end48:
	.size	_Z25warp_store_guarded_kernelILj1024ELj4ELj1ELN7rocprim17ROCPRIM_304000_NS17warp_store_methodE3EfEvPT3_S4_i, .Lfunc_end48-_Z25warp_store_guarded_kernelILj1024ELj4ELj1ELN7rocprim17ROCPRIM_304000_NS17warp_store_methodE3EfEvPT3_S4_i
                                        ; -- End function
	.section	.AMDGPU.csdata,"",@progbits
; Kernel info:
; codeLenInByte = 212
; NumSgprs: 8
; NumVgprs: 9
; ScratchSize: 0
; MemoryBound: 0
; FloatMode: 240
; IeeeMode: 1
; LDSByteSize: 16384 bytes/workgroup (compile time only)
; SGPRBlocks: 0
; VGPRBlocks: 1
; NumSGPRsForWavesPerEU: 8
; NumVGPRsForWavesPerEU: 9
; Occupancy: 16
; WaveLimiterHint : 0
; COMPUTE_PGM_RSRC2:SCRATCH_EN: 0
; COMPUTE_PGM_RSRC2:USER_SGPR: 15
; COMPUTE_PGM_RSRC2:TRAP_HANDLER: 0
; COMPUTE_PGM_RSRC2:TGID_X_EN: 1
; COMPUTE_PGM_RSRC2:TGID_Y_EN: 0
; COMPUTE_PGM_RSRC2:TGID_Z_EN: 0
; COMPUTE_PGM_RSRC2:TIDIG_COMP_CNT: 0
	.section	.text._Z25warp_store_guarded_kernelILj1024ELj4ELj1ELN7rocprim17ROCPRIM_304000_NS17warp_store_methodE2EfEvPT3_S4_i,"axG",@progbits,_Z25warp_store_guarded_kernelILj1024ELj4ELj1ELN7rocprim17ROCPRIM_304000_NS17warp_store_methodE2EfEvPT3_S4_i,comdat
	.protected	_Z25warp_store_guarded_kernelILj1024ELj4ELj1ELN7rocprim17ROCPRIM_304000_NS17warp_store_methodE2EfEvPT3_S4_i ; -- Begin function _Z25warp_store_guarded_kernelILj1024ELj4ELj1ELN7rocprim17ROCPRIM_304000_NS17warp_store_methodE2EfEvPT3_S4_i
	.globl	_Z25warp_store_guarded_kernelILj1024ELj4ELj1ELN7rocprim17ROCPRIM_304000_NS17warp_store_methodE2EfEvPT3_S4_i
	.p2align	8
	.type	_Z25warp_store_guarded_kernelILj1024ELj4ELj1ELN7rocprim17ROCPRIM_304000_NS17warp_store_methodE2EfEvPT3_S4_i,@function
_Z25warp_store_guarded_kernelILj1024ELj4ELj1ELN7rocprim17ROCPRIM_304000_NS17warp_store_methodE2EfEvPT3_S4_i: ; @_Z25warp_store_guarded_kernelILj1024ELj4ELj1ELN7rocprim17ROCPRIM_304000_NS17warp_store_methodE2EfEvPT3_S4_i
; %bb.0:
	s_load_b128 s[4:7], s[0:1], 0x0
	v_lshlrev_b32_e32 v5, 4, v0
	s_load_b32 s0, s[0:1], 0x10
	s_waitcnt lgkmcnt(0)
	global_load_b96 v[0:2], v5, s[4:5] offset:4
	v_add_co_u32 v3, s1, s6, v5
	s_delay_alu instid0(VALU_DEP_1)
	v_add_co_ci_u32_e64 v4, null, s7, 0, s1
	s_cmp_eq_u32 s0, 0
	s_cbranch_scc1 .LBB49_2
; %bb.1:
	v_add_co_u32 v5, s1, s4, v5
	s_delay_alu instid0(VALU_DEP_1)
	v_add_co_ci_u32_e64 v6, null, s5, 0, s1
	global_load_b32 v5, v[5:6], off
	s_waitcnt vmcnt(0)
	global_store_b32 v[3:4], v5, off
.LBB49_2:
	s_cmp_lt_u32 s0, 2
	s_cbranch_scc0 .LBB49_6
; %bb.3:
	s_cmp_lt_u32 s0, 3
	s_cbranch_scc0 .LBB49_7
.LBB49_4:
	s_cmp_lt_u32 s0, 4
	s_cbranch_scc0 .LBB49_8
.LBB49_5:
	s_nop 0
	s_sendmsg sendmsg(MSG_DEALLOC_VGPRS)
	s_endpgm
.LBB49_6:
	s_waitcnt vmcnt(0)
	global_store_b32 v[3:4], v0, off offset:4
	s_cmp_lt_u32 s0, 3
	s_cbranch_scc1 .LBB49_4
.LBB49_7:
	s_waitcnt vmcnt(0)
	global_store_b32 v[3:4], v1, off offset:8
	s_cmp_lt_u32 s0, 4
	s_cbranch_scc1 .LBB49_5
.LBB49_8:
	s_waitcnt vmcnt(0)
	global_store_b32 v[3:4], v2, off offset:12
	s_nop 0
	s_sendmsg sendmsg(MSG_DEALLOC_VGPRS)
	s_endpgm
	.section	.rodata,"a",@progbits
	.p2align	6, 0x0
	.amdhsa_kernel _Z25warp_store_guarded_kernelILj1024ELj4ELj1ELN7rocprim17ROCPRIM_304000_NS17warp_store_methodE2EfEvPT3_S4_i
		.amdhsa_group_segment_fixed_size 0
		.amdhsa_private_segment_fixed_size 0
		.amdhsa_kernarg_size 20
		.amdhsa_user_sgpr_count 15
		.amdhsa_user_sgpr_dispatch_ptr 0
		.amdhsa_user_sgpr_queue_ptr 0
		.amdhsa_user_sgpr_kernarg_segment_ptr 1
		.amdhsa_user_sgpr_dispatch_id 0
		.amdhsa_user_sgpr_private_segment_size 0
		.amdhsa_wavefront_size32 1
		.amdhsa_uses_dynamic_stack 0
		.amdhsa_enable_private_segment 0
		.amdhsa_system_sgpr_workgroup_id_x 1
		.amdhsa_system_sgpr_workgroup_id_y 0
		.amdhsa_system_sgpr_workgroup_id_z 0
		.amdhsa_system_sgpr_workgroup_info 0
		.amdhsa_system_vgpr_workitem_id 0
		.amdhsa_next_free_vgpr 7
		.amdhsa_next_free_sgpr 8
		.amdhsa_reserve_vcc 0
		.amdhsa_float_round_mode_32 0
		.amdhsa_float_round_mode_16_64 0
		.amdhsa_float_denorm_mode_32 3
		.amdhsa_float_denorm_mode_16_64 3
		.amdhsa_dx10_clamp 1
		.amdhsa_ieee_mode 1
		.amdhsa_fp16_overflow 0
		.amdhsa_workgroup_processor_mode 1
		.amdhsa_memory_ordered 1
		.amdhsa_forward_progress 0
		.amdhsa_shared_vgpr_count 0
		.amdhsa_exception_fp_ieee_invalid_op 0
		.amdhsa_exception_fp_denorm_src 0
		.amdhsa_exception_fp_ieee_div_zero 0
		.amdhsa_exception_fp_ieee_overflow 0
		.amdhsa_exception_fp_ieee_underflow 0
		.amdhsa_exception_fp_ieee_inexact 0
		.amdhsa_exception_int_div_zero 0
	.end_amdhsa_kernel
	.section	.text._Z25warp_store_guarded_kernelILj1024ELj4ELj1ELN7rocprim17ROCPRIM_304000_NS17warp_store_methodE2EfEvPT3_S4_i,"axG",@progbits,_Z25warp_store_guarded_kernelILj1024ELj4ELj1ELN7rocprim17ROCPRIM_304000_NS17warp_store_methodE2EfEvPT3_S4_i,comdat
.Lfunc_end49:
	.size	_Z25warp_store_guarded_kernelILj1024ELj4ELj1ELN7rocprim17ROCPRIM_304000_NS17warp_store_methodE2EfEvPT3_S4_i, .Lfunc_end49-_Z25warp_store_guarded_kernelILj1024ELj4ELj1ELN7rocprim17ROCPRIM_304000_NS17warp_store_methodE2EfEvPT3_S4_i
                                        ; -- End function
	.section	.AMDGPU.csdata,"",@progbits
; Kernel info:
; codeLenInByte = 200
; NumSgprs: 8
; NumVgprs: 7
; ScratchSize: 0
; MemoryBound: 0
; FloatMode: 240
; IeeeMode: 1
; LDSByteSize: 0 bytes/workgroup (compile time only)
; SGPRBlocks: 0
; VGPRBlocks: 0
; NumSGPRsForWavesPerEU: 8
; NumVGPRsForWavesPerEU: 7
; Occupancy: 16
; WaveLimiterHint : 0
; COMPUTE_PGM_RSRC2:SCRATCH_EN: 0
; COMPUTE_PGM_RSRC2:USER_SGPR: 15
; COMPUTE_PGM_RSRC2:TRAP_HANDLER: 0
; COMPUTE_PGM_RSRC2:TGID_X_EN: 1
; COMPUTE_PGM_RSRC2:TGID_Y_EN: 0
; COMPUTE_PGM_RSRC2:TGID_Z_EN: 0
; COMPUTE_PGM_RSRC2:TIDIG_COMP_CNT: 0
	.section	.text._Z25warp_store_guarded_kernelILj1024ELj4ELj1ELN7rocprim17ROCPRIM_304000_NS17warp_store_methodE1EfEvPT3_S4_i,"axG",@progbits,_Z25warp_store_guarded_kernelILj1024ELj4ELj1ELN7rocprim17ROCPRIM_304000_NS17warp_store_methodE1EfEvPT3_S4_i,comdat
	.protected	_Z25warp_store_guarded_kernelILj1024ELj4ELj1ELN7rocprim17ROCPRIM_304000_NS17warp_store_methodE1EfEvPT3_S4_i ; -- Begin function _Z25warp_store_guarded_kernelILj1024ELj4ELj1ELN7rocprim17ROCPRIM_304000_NS17warp_store_methodE1EfEvPT3_S4_i
	.globl	_Z25warp_store_guarded_kernelILj1024ELj4ELj1ELN7rocprim17ROCPRIM_304000_NS17warp_store_methodE1EfEvPT3_S4_i
	.p2align	8
	.type	_Z25warp_store_guarded_kernelILj1024ELj4ELj1ELN7rocprim17ROCPRIM_304000_NS17warp_store_methodE1EfEvPT3_S4_i,@function
_Z25warp_store_guarded_kernelILj1024ELj4ELj1ELN7rocprim17ROCPRIM_304000_NS17warp_store_methodE1EfEvPT3_S4_i: ; @_Z25warp_store_guarded_kernelILj1024ELj4ELj1ELN7rocprim17ROCPRIM_304000_NS17warp_store_methodE1EfEvPT3_S4_i
; %bb.0:
	s_load_b128 s[4:7], s[0:1], 0x0
	v_lshlrev_b32_e32 v5, 4, v0
	s_load_b32 s0, s[0:1], 0x10
	s_waitcnt lgkmcnt(0)
	global_load_b96 v[0:2], v5, s[4:5] offset:4
	v_add_co_u32 v3, s1, s6, v5
	s_delay_alu instid0(VALU_DEP_1)
	v_add_co_ci_u32_e64 v4, null, s7, 0, s1
	s_cmp_eq_u32 s0, 0
	s_cbranch_scc1 .LBB50_2
; %bb.1:
	v_add_co_u32 v5, s1, s4, v5
	s_delay_alu instid0(VALU_DEP_1)
	v_add_co_ci_u32_e64 v6, null, s5, 0, s1
	global_load_b32 v5, v[5:6], off
	s_waitcnt vmcnt(0)
	global_store_b32 v[3:4], v5, off
.LBB50_2:
	s_cmp_lt_u32 s0, 2
	s_cbranch_scc0 .LBB50_6
; %bb.3:
	s_cmp_lt_u32 s0, 3
	s_cbranch_scc0 .LBB50_7
.LBB50_4:
	s_cmp_lt_u32 s0, 4
	s_cbranch_scc0 .LBB50_8
.LBB50_5:
	s_nop 0
	s_sendmsg sendmsg(MSG_DEALLOC_VGPRS)
	s_endpgm
.LBB50_6:
	s_waitcnt vmcnt(0)
	global_store_b32 v[3:4], v0, off offset:4
	s_cmp_lt_u32 s0, 3
	s_cbranch_scc1 .LBB50_4
.LBB50_7:
	s_waitcnt vmcnt(0)
	global_store_b32 v[3:4], v1, off offset:8
	s_cmp_lt_u32 s0, 4
	s_cbranch_scc1 .LBB50_5
.LBB50_8:
	s_waitcnt vmcnt(0)
	global_store_b32 v[3:4], v2, off offset:12
	s_nop 0
	s_sendmsg sendmsg(MSG_DEALLOC_VGPRS)
	s_endpgm
	.section	.rodata,"a",@progbits
	.p2align	6, 0x0
	.amdhsa_kernel _Z25warp_store_guarded_kernelILj1024ELj4ELj1ELN7rocprim17ROCPRIM_304000_NS17warp_store_methodE1EfEvPT3_S4_i
		.amdhsa_group_segment_fixed_size 0
		.amdhsa_private_segment_fixed_size 0
		.amdhsa_kernarg_size 20
		.amdhsa_user_sgpr_count 15
		.amdhsa_user_sgpr_dispatch_ptr 0
		.amdhsa_user_sgpr_queue_ptr 0
		.amdhsa_user_sgpr_kernarg_segment_ptr 1
		.amdhsa_user_sgpr_dispatch_id 0
		.amdhsa_user_sgpr_private_segment_size 0
		.amdhsa_wavefront_size32 1
		.amdhsa_uses_dynamic_stack 0
		.amdhsa_enable_private_segment 0
		.amdhsa_system_sgpr_workgroup_id_x 1
		.amdhsa_system_sgpr_workgroup_id_y 0
		.amdhsa_system_sgpr_workgroup_id_z 0
		.amdhsa_system_sgpr_workgroup_info 0
		.amdhsa_system_vgpr_workitem_id 0
		.amdhsa_next_free_vgpr 7
		.amdhsa_next_free_sgpr 8
		.amdhsa_reserve_vcc 0
		.amdhsa_float_round_mode_32 0
		.amdhsa_float_round_mode_16_64 0
		.amdhsa_float_denorm_mode_32 3
		.amdhsa_float_denorm_mode_16_64 3
		.amdhsa_dx10_clamp 1
		.amdhsa_ieee_mode 1
		.amdhsa_fp16_overflow 0
		.amdhsa_workgroup_processor_mode 1
		.amdhsa_memory_ordered 1
		.amdhsa_forward_progress 0
		.amdhsa_shared_vgpr_count 0
		.amdhsa_exception_fp_ieee_invalid_op 0
		.amdhsa_exception_fp_denorm_src 0
		.amdhsa_exception_fp_ieee_div_zero 0
		.amdhsa_exception_fp_ieee_overflow 0
		.amdhsa_exception_fp_ieee_underflow 0
		.amdhsa_exception_fp_ieee_inexact 0
		.amdhsa_exception_int_div_zero 0
	.end_amdhsa_kernel
	.section	.text._Z25warp_store_guarded_kernelILj1024ELj4ELj1ELN7rocprim17ROCPRIM_304000_NS17warp_store_methodE1EfEvPT3_S4_i,"axG",@progbits,_Z25warp_store_guarded_kernelILj1024ELj4ELj1ELN7rocprim17ROCPRIM_304000_NS17warp_store_methodE1EfEvPT3_S4_i,comdat
.Lfunc_end50:
	.size	_Z25warp_store_guarded_kernelILj1024ELj4ELj1ELN7rocprim17ROCPRIM_304000_NS17warp_store_methodE1EfEvPT3_S4_i, .Lfunc_end50-_Z25warp_store_guarded_kernelILj1024ELj4ELj1ELN7rocprim17ROCPRIM_304000_NS17warp_store_methodE1EfEvPT3_S4_i
                                        ; -- End function
	.section	.AMDGPU.csdata,"",@progbits
; Kernel info:
; codeLenInByte = 200
; NumSgprs: 8
; NumVgprs: 7
; ScratchSize: 0
; MemoryBound: 0
; FloatMode: 240
; IeeeMode: 1
; LDSByteSize: 0 bytes/workgroup (compile time only)
; SGPRBlocks: 0
; VGPRBlocks: 0
; NumSGPRsForWavesPerEU: 8
; NumVGPRsForWavesPerEU: 7
; Occupancy: 16
; WaveLimiterHint : 0
; COMPUTE_PGM_RSRC2:SCRATCH_EN: 0
; COMPUTE_PGM_RSRC2:USER_SGPR: 15
; COMPUTE_PGM_RSRC2:TRAP_HANDLER: 0
; COMPUTE_PGM_RSRC2:TGID_X_EN: 1
; COMPUTE_PGM_RSRC2:TGID_Y_EN: 0
; COMPUTE_PGM_RSRC2:TGID_Z_EN: 0
; COMPUTE_PGM_RSRC2:TIDIG_COMP_CNT: 0
	.section	.text._Z25warp_store_guarded_kernelILj1024ELj4ELj1ELN7rocprim17ROCPRIM_304000_NS17warp_store_methodE0EfEvPT3_S4_i,"axG",@progbits,_Z25warp_store_guarded_kernelILj1024ELj4ELj1ELN7rocprim17ROCPRIM_304000_NS17warp_store_methodE0EfEvPT3_S4_i,comdat
	.protected	_Z25warp_store_guarded_kernelILj1024ELj4ELj1ELN7rocprim17ROCPRIM_304000_NS17warp_store_methodE0EfEvPT3_S4_i ; -- Begin function _Z25warp_store_guarded_kernelILj1024ELj4ELj1ELN7rocprim17ROCPRIM_304000_NS17warp_store_methodE0EfEvPT3_S4_i
	.globl	_Z25warp_store_guarded_kernelILj1024ELj4ELj1ELN7rocprim17ROCPRIM_304000_NS17warp_store_methodE0EfEvPT3_S4_i
	.p2align	8
	.type	_Z25warp_store_guarded_kernelILj1024ELj4ELj1ELN7rocprim17ROCPRIM_304000_NS17warp_store_methodE0EfEvPT3_S4_i,@function
_Z25warp_store_guarded_kernelILj1024ELj4ELj1ELN7rocprim17ROCPRIM_304000_NS17warp_store_methodE0EfEvPT3_S4_i: ; @_Z25warp_store_guarded_kernelILj1024ELj4ELj1ELN7rocprim17ROCPRIM_304000_NS17warp_store_methodE0EfEvPT3_S4_i
; %bb.0:
	s_load_b128 s[4:7], s[0:1], 0x0
	v_lshlrev_b32_e32 v5, 4, v0
	s_load_b32 s0, s[0:1], 0x10
	s_waitcnt lgkmcnt(0)
	global_load_b96 v[0:2], v5, s[4:5] offset:4
	v_add_co_u32 v3, s1, s6, v5
	s_delay_alu instid0(VALU_DEP_1)
	v_add_co_ci_u32_e64 v4, null, s7, 0, s1
	s_cmp_eq_u32 s0, 0
	s_cbranch_scc1 .LBB51_2
; %bb.1:
	v_add_co_u32 v5, s1, s4, v5
	s_delay_alu instid0(VALU_DEP_1)
	v_add_co_ci_u32_e64 v6, null, s5, 0, s1
	global_load_b32 v5, v[5:6], off
	s_waitcnt vmcnt(0)
	global_store_b32 v[3:4], v5, off
.LBB51_2:
	s_cmp_lt_u32 s0, 2
	s_cbranch_scc0 .LBB51_6
; %bb.3:
	s_cmp_lt_u32 s0, 3
	s_cbranch_scc0 .LBB51_7
.LBB51_4:
	s_cmp_lt_u32 s0, 4
	s_cbranch_scc0 .LBB51_8
.LBB51_5:
	s_nop 0
	s_sendmsg sendmsg(MSG_DEALLOC_VGPRS)
	s_endpgm
.LBB51_6:
	s_waitcnt vmcnt(0)
	global_store_b32 v[3:4], v0, off offset:4
	s_cmp_lt_u32 s0, 3
	s_cbranch_scc1 .LBB51_4
.LBB51_7:
	s_waitcnt vmcnt(0)
	global_store_b32 v[3:4], v1, off offset:8
	s_cmp_lt_u32 s0, 4
	s_cbranch_scc1 .LBB51_5
.LBB51_8:
	s_waitcnt vmcnt(0)
	global_store_b32 v[3:4], v2, off offset:12
	s_nop 0
	s_sendmsg sendmsg(MSG_DEALLOC_VGPRS)
	s_endpgm
	.section	.rodata,"a",@progbits
	.p2align	6, 0x0
	.amdhsa_kernel _Z25warp_store_guarded_kernelILj1024ELj4ELj1ELN7rocprim17ROCPRIM_304000_NS17warp_store_methodE0EfEvPT3_S4_i
		.amdhsa_group_segment_fixed_size 0
		.amdhsa_private_segment_fixed_size 0
		.amdhsa_kernarg_size 20
		.amdhsa_user_sgpr_count 15
		.amdhsa_user_sgpr_dispatch_ptr 0
		.amdhsa_user_sgpr_queue_ptr 0
		.amdhsa_user_sgpr_kernarg_segment_ptr 1
		.amdhsa_user_sgpr_dispatch_id 0
		.amdhsa_user_sgpr_private_segment_size 0
		.amdhsa_wavefront_size32 1
		.amdhsa_uses_dynamic_stack 0
		.amdhsa_enable_private_segment 0
		.amdhsa_system_sgpr_workgroup_id_x 1
		.amdhsa_system_sgpr_workgroup_id_y 0
		.amdhsa_system_sgpr_workgroup_id_z 0
		.amdhsa_system_sgpr_workgroup_info 0
		.amdhsa_system_vgpr_workitem_id 0
		.amdhsa_next_free_vgpr 7
		.amdhsa_next_free_sgpr 8
		.amdhsa_reserve_vcc 0
		.amdhsa_float_round_mode_32 0
		.amdhsa_float_round_mode_16_64 0
		.amdhsa_float_denorm_mode_32 3
		.amdhsa_float_denorm_mode_16_64 3
		.amdhsa_dx10_clamp 1
		.amdhsa_ieee_mode 1
		.amdhsa_fp16_overflow 0
		.amdhsa_workgroup_processor_mode 1
		.amdhsa_memory_ordered 1
		.amdhsa_forward_progress 0
		.amdhsa_shared_vgpr_count 0
		.amdhsa_exception_fp_ieee_invalid_op 0
		.amdhsa_exception_fp_denorm_src 0
		.amdhsa_exception_fp_ieee_div_zero 0
		.amdhsa_exception_fp_ieee_overflow 0
		.amdhsa_exception_fp_ieee_underflow 0
		.amdhsa_exception_fp_ieee_inexact 0
		.amdhsa_exception_int_div_zero 0
	.end_amdhsa_kernel
	.section	.text._Z25warp_store_guarded_kernelILj1024ELj4ELj1ELN7rocprim17ROCPRIM_304000_NS17warp_store_methodE0EfEvPT3_S4_i,"axG",@progbits,_Z25warp_store_guarded_kernelILj1024ELj4ELj1ELN7rocprim17ROCPRIM_304000_NS17warp_store_methodE0EfEvPT3_S4_i,comdat
.Lfunc_end51:
	.size	_Z25warp_store_guarded_kernelILj1024ELj4ELj1ELN7rocprim17ROCPRIM_304000_NS17warp_store_methodE0EfEvPT3_S4_i, .Lfunc_end51-_Z25warp_store_guarded_kernelILj1024ELj4ELj1ELN7rocprim17ROCPRIM_304000_NS17warp_store_methodE0EfEvPT3_S4_i
                                        ; -- End function
	.section	.AMDGPU.csdata,"",@progbits
; Kernel info:
; codeLenInByte = 200
; NumSgprs: 8
; NumVgprs: 7
; ScratchSize: 0
; MemoryBound: 0
; FloatMode: 240
; IeeeMode: 1
; LDSByteSize: 0 bytes/workgroup (compile time only)
; SGPRBlocks: 0
; VGPRBlocks: 0
; NumSGPRsForWavesPerEU: 8
; NumVGPRsForWavesPerEU: 7
; Occupancy: 16
; WaveLimiterHint : 0
; COMPUTE_PGM_RSRC2:SCRATCH_EN: 0
; COMPUTE_PGM_RSRC2:USER_SGPR: 15
; COMPUTE_PGM_RSRC2:TRAP_HANDLER: 0
; COMPUTE_PGM_RSRC2:TGID_X_EN: 1
; COMPUTE_PGM_RSRC2:TGID_Y_EN: 0
; COMPUTE_PGM_RSRC2:TGID_Z_EN: 0
; COMPUTE_PGM_RSRC2:TIDIG_COMP_CNT: 0
	.section	.text._Z25warp_store_guarded_kernelILj1024ELj4ELj1ELN7rocprim17ROCPRIM_304000_NS17warp_store_methodE3EhEvPT3_S4_i,"axG",@progbits,_Z25warp_store_guarded_kernelILj1024ELj4ELj1ELN7rocprim17ROCPRIM_304000_NS17warp_store_methodE3EhEvPT3_S4_i,comdat
	.protected	_Z25warp_store_guarded_kernelILj1024ELj4ELj1ELN7rocprim17ROCPRIM_304000_NS17warp_store_methodE3EhEvPT3_S4_i ; -- Begin function _Z25warp_store_guarded_kernelILj1024ELj4ELj1ELN7rocprim17ROCPRIM_304000_NS17warp_store_methodE3EhEvPT3_S4_i
	.globl	_Z25warp_store_guarded_kernelILj1024ELj4ELj1ELN7rocprim17ROCPRIM_304000_NS17warp_store_methodE3EhEvPT3_S4_i
	.p2align	8
	.type	_Z25warp_store_guarded_kernelILj1024ELj4ELj1ELN7rocprim17ROCPRIM_304000_NS17warp_store_methodE3EhEvPT3_S4_i,@function
_Z25warp_store_guarded_kernelILj1024ELj4ELj1ELN7rocprim17ROCPRIM_304000_NS17warp_store_methodE3EhEvPT3_S4_i: ; @_Z25warp_store_guarded_kernelILj1024ELj4ELj1ELN7rocprim17ROCPRIM_304000_NS17warp_store_methodE3EhEvPT3_S4_i
; %bb.0:
	s_load_b128 s[4:7], s[0:1], 0x0
	v_lshlrev_b32_e32 v2, 2, v0
	s_load_b32 s0, s[0:1], 0x10
	s_waitcnt lgkmcnt(0)
	global_load_b32 v3, v2, s[4:5]
	v_add_co_u32 v0, s1, s6, v2
	s_delay_alu instid0(VALU_DEP_1)
	v_add_co_ci_u32_e64 v1, null, s7, 0, s1
	s_cmp_eq_u32 s0, 0
	s_waitcnt vmcnt(0)
	ds_store_b32 v2, v3
	; wave barrier
	s_cbranch_scc1 .LBB52_2
; %bb.1:
	ds_load_u8 v3, v2
	s_waitcnt lgkmcnt(0)
	global_store_b8 v[0:1], v3, off
.LBB52_2:
	s_cmp_lt_u32 s0, 2
	s_cbranch_scc0 .LBB52_6
; %bb.3:
	ds_load_u16 v2, v2 offset:2
	s_cmp_lt_u32 s0, 3
	s_cbranch_scc0 .LBB52_7
.LBB52_4:
	s_cmp_lt_u32 s0, 4
	s_cbranch_scc0 .LBB52_8
.LBB52_5:
	s_nop 0
	s_sendmsg sendmsg(MSG_DEALLOC_VGPRS)
	s_endpgm
.LBB52_6:
	ds_load_u8 v3, v2 offset:1
	s_waitcnt lgkmcnt(0)
	global_store_b8 v[0:1], v3, off offset:1
	ds_load_u16 v2, v2 offset:2
	s_cmp_lt_u32 s0, 3
	s_cbranch_scc1 .LBB52_4
.LBB52_7:
	s_waitcnt lgkmcnt(0)
	global_store_b8 v[0:1], v2, off offset:2
	s_cmp_lt_u32 s0, 4
	s_cbranch_scc1 .LBB52_5
.LBB52_8:
	s_waitcnt lgkmcnt(0)
	v_lshrrev_b16 v2, 8, v2
	global_store_b8 v[0:1], v2, off offset:3
	s_nop 0
	s_sendmsg sendmsg(MSG_DEALLOC_VGPRS)
	s_endpgm
	.section	.rodata,"a",@progbits
	.p2align	6, 0x0
	.amdhsa_kernel _Z25warp_store_guarded_kernelILj1024ELj4ELj1ELN7rocprim17ROCPRIM_304000_NS17warp_store_methodE3EhEvPT3_S4_i
		.amdhsa_group_segment_fixed_size 4096
		.amdhsa_private_segment_fixed_size 0
		.amdhsa_kernarg_size 20
		.amdhsa_user_sgpr_count 15
		.amdhsa_user_sgpr_dispatch_ptr 0
		.amdhsa_user_sgpr_queue_ptr 0
		.amdhsa_user_sgpr_kernarg_segment_ptr 1
		.amdhsa_user_sgpr_dispatch_id 0
		.amdhsa_user_sgpr_private_segment_size 0
		.amdhsa_wavefront_size32 1
		.amdhsa_uses_dynamic_stack 0
		.amdhsa_enable_private_segment 0
		.amdhsa_system_sgpr_workgroup_id_x 1
		.amdhsa_system_sgpr_workgroup_id_y 0
		.amdhsa_system_sgpr_workgroup_id_z 0
		.amdhsa_system_sgpr_workgroup_info 0
		.amdhsa_system_vgpr_workitem_id 0
		.amdhsa_next_free_vgpr 4
		.amdhsa_next_free_sgpr 8
		.amdhsa_reserve_vcc 0
		.amdhsa_float_round_mode_32 0
		.amdhsa_float_round_mode_16_64 0
		.amdhsa_float_denorm_mode_32 3
		.amdhsa_float_denorm_mode_16_64 3
		.amdhsa_dx10_clamp 1
		.amdhsa_ieee_mode 1
		.amdhsa_fp16_overflow 0
		.amdhsa_workgroup_processor_mode 1
		.amdhsa_memory_ordered 1
		.amdhsa_forward_progress 0
		.amdhsa_shared_vgpr_count 0
		.amdhsa_exception_fp_ieee_invalid_op 0
		.amdhsa_exception_fp_denorm_src 0
		.amdhsa_exception_fp_ieee_div_zero 0
		.amdhsa_exception_fp_ieee_overflow 0
		.amdhsa_exception_fp_ieee_underflow 0
		.amdhsa_exception_fp_ieee_inexact 0
		.amdhsa_exception_int_div_zero 0
	.end_amdhsa_kernel
	.section	.text._Z25warp_store_guarded_kernelILj1024ELj4ELj1ELN7rocprim17ROCPRIM_304000_NS17warp_store_methodE3EhEvPT3_S4_i,"axG",@progbits,_Z25warp_store_guarded_kernelILj1024ELj4ELj1ELN7rocprim17ROCPRIM_304000_NS17warp_store_methodE3EhEvPT3_S4_i,comdat
.Lfunc_end52:
	.size	_Z25warp_store_guarded_kernelILj1024ELj4ELj1ELN7rocprim17ROCPRIM_304000_NS17warp_store_methodE3EhEvPT3_S4_i, .Lfunc_end52-_Z25warp_store_guarded_kernelILj1024ELj4ELj1ELN7rocprim17ROCPRIM_304000_NS17warp_store_methodE3EhEvPT3_S4_i
                                        ; -- End function
	.section	.AMDGPU.csdata,"",@progbits
; Kernel info:
; codeLenInByte = 224
; NumSgprs: 8
; NumVgprs: 4
; ScratchSize: 0
; MemoryBound: 0
; FloatMode: 240
; IeeeMode: 1
; LDSByteSize: 4096 bytes/workgroup (compile time only)
; SGPRBlocks: 0
; VGPRBlocks: 0
; NumSGPRsForWavesPerEU: 8
; NumVGPRsForWavesPerEU: 4
; Occupancy: 16
; WaveLimiterHint : 0
; COMPUTE_PGM_RSRC2:SCRATCH_EN: 0
; COMPUTE_PGM_RSRC2:USER_SGPR: 15
; COMPUTE_PGM_RSRC2:TRAP_HANDLER: 0
; COMPUTE_PGM_RSRC2:TGID_X_EN: 1
; COMPUTE_PGM_RSRC2:TGID_Y_EN: 0
; COMPUTE_PGM_RSRC2:TGID_Z_EN: 0
; COMPUTE_PGM_RSRC2:TIDIG_COMP_CNT: 0
	.section	.text._Z25warp_store_guarded_kernelILj1024ELj4ELj1ELN7rocprim17ROCPRIM_304000_NS17warp_store_methodE2EhEvPT3_S4_i,"axG",@progbits,_Z25warp_store_guarded_kernelILj1024ELj4ELj1ELN7rocprim17ROCPRIM_304000_NS17warp_store_methodE2EhEvPT3_S4_i,comdat
	.protected	_Z25warp_store_guarded_kernelILj1024ELj4ELj1ELN7rocprim17ROCPRIM_304000_NS17warp_store_methodE2EhEvPT3_S4_i ; -- Begin function _Z25warp_store_guarded_kernelILj1024ELj4ELj1ELN7rocprim17ROCPRIM_304000_NS17warp_store_methodE2EhEvPT3_S4_i
	.globl	_Z25warp_store_guarded_kernelILj1024ELj4ELj1ELN7rocprim17ROCPRIM_304000_NS17warp_store_methodE2EhEvPT3_S4_i
	.p2align	8
	.type	_Z25warp_store_guarded_kernelILj1024ELj4ELj1ELN7rocprim17ROCPRIM_304000_NS17warp_store_methodE2EhEvPT3_S4_i,@function
_Z25warp_store_guarded_kernelILj1024ELj4ELj1ELN7rocprim17ROCPRIM_304000_NS17warp_store_methodE2EhEvPT3_S4_i: ; @_Z25warp_store_guarded_kernelILj1024ELj4ELj1ELN7rocprim17ROCPRIM_304000_NS17warp_store_methodE2EhEvPT3_S4_i
; %bb.0:
	s_load_b128 s[4:7], s[0:1], 0x0
	v_lshlrev_b32_e32 v2, 2, v0
	s_load_b32 s0, s[0:1], 0x10
	s_waitcnt lgkmcnt(0)
	s_clause 0x1
	global_load_u16 v0, v2, s[4:5] offset:1
	global_load_u8 v3, v2, s[4:5] offset:3
	s_cmp_eq_u32 s0, 0
	s_waitcnt vmcnt(1)
	v_lshrrev_b32_e32 v1, 8, v0
	v_and_b32_e32 v0, 0xff, v0
	s_delay_alu instid0(VALU_DEP_2) | instskip(NEXT) | instid1(VALU_DEP_1)
	v_lshlrev_b16 v1, 8, v1
	v_or_b32_e32 v0, v0, v1
	s_delay_alu instid0(VALU_DEP_1) | instskip(SKIP_1) | instid1(VALU_DEP_1)
	v_and_b32_e32 v4, 0xffff, v0
	v_add_co_u32 v0, s1, s6, v2
	v_add_co_ci_u32_e64 v1, null, s7, 0, s1
	s_cbranch_scc1 .LBB53_2
; %bb.1:
	v_add_co_u32 v5, s1, s4, v2
	s_delay_alu instid0(VALU_DEP_1)
	v_add_co_ci_u32_e64 v6, null, s5, 0, s1
	global_load_u8 v2, v[5:6], off
	s_waitcnt vmcnt(0)
	global_store_b8 v[0:1], v2, off
.LBB53_2:
	s_waitcnt vmcnt(0)
	v_lshl_or_b32 v2, v3, 16, v4
	s_cmp_lt_u32 s0, 2
	s_cbranch_scc0 .LBB53_6
; %bb.3:
	s_cmp_lt_u32 s0, 3
	s_cbranch_scc0 .LBB53_7
.LBB53_4:
	s_cmp_lt_u32 s0, 4
	s_cbranch_scc0 .LBB53_8
.LBB53_5:
	s_nop 0
	s_sendmsg sendmsg(MSG_DEALLOC_VGPRS)
	s_endpgm
.LBB53_6:
	global_store_b8 v[0:1], v2, off offset:1
	s_cmp_lt_u32 s0, 3
	s_cbranch_scc1 .LBB53_4
.LBB53_7:
	v_lshrrev_b32_e32 v3, 8, v2
	global_store_b8 v[0:1], v3, off offset:2
	s_cmp_lt_u32 s0, 4
	s_cbranch_scc1 .LBB53_5
.LBB53_8:
	global_store_d16_hi_b8 v[0:1], v2, off offset:3
	s_nop 0
	s_sendmsg sendmsg(MSG_DEALLOC_VGPRS)
	s_endpgm
	.section	.rodata,"a",@progbits
	.p2align	6, 0x0
	.amdhsa_kernel _Z25warp_store_guarded_kernelILj1024ELj4ELj1ELN7rocprim17ROCPRIM_304000_NS17warp_store_methodE2EhEvPT3_S4_i
		.amdhsa_group_segment_fixed_size 0
		.amdhsa_private_segment_fixed_size 0
		.amdhsa_kernarg_size 20
		.amdhsa_user_sgpr_count 15
		.amdhsa_user_sgpr_dispatch_ptr 0
		.amdhsa_user_sgpr_queue_ptr 0
		.amdhsa_user_sgpr_kernarg_segment_ptr 1
		.amdhsa_user_sgpr_dispatch_id 0
		.amdhsa_user_sgpr_private_segment_size 0
		.amdhsa_wavefront_size32 1
		.amdhsa_uses_dynamic_stack 0
		.amdhsa_enable_private_segment 0
		.amdhsa_system_sgpr_workgroup_id_x 1
		.amdhsa_system_sgpr_workgroup_id_y 0
		.amdhsa_system_sgpr_workgroup_id_z 0
		.amdhsa_system_sgpr_workgroup_info 0
		.amdhsa_system_vgpr_workitem_id 0
		.amdhsa_next_free_vgpr 7
		.amdhsa_next_free_sgpr 8
		.amdhsa_reserve_vcc 0
		.amdhsa_float_round_mode_32 0
		.amdhsa_float_round_mode_16_64 0
		.amdhsa_float_denorm_mode_32 3
		.amdhsa_float_denorm_mode_16_64 3
		.amdhsa_dx10_clamp 1
		.amdhsa_ieee_mode 1
		.amdhsa_fp16_overflow 0
		.amdhsa_workgroup_processor_mode 1
		.amdhsa_memory_ordered 1
		.amdhsa_forward_progress 0
		.amdhsa_shared_vgpr_count 0
		.amdhsa_exception_fp_ieee_invalid_op 0
		.amdhsa_exception_fp_denorm_src 0
		.amdhsa_exception_fp_ieee_div_zero 0
		.amdhsa_exception_fp_ieee_overflow 0
		.amdhsa_exception_fp_ieee_underflow 0
		.amdhsa_exception_fp_ieee_inexact 0
		.amdhsa_exception_int_div_zero 0
	.end_amdhsa_kernel
	.section	.text._Z25warp_store_guarded_kernelILj1024ELj4ELj1ELN7rocprim17ROCPRIM_304000_NS17warp_store_methodE2EhEvPT3_S4_i,"axG",@progbits,_Z25warp_store_guarded_kernelILj1024ELj4ELj1ELN7rocprim17ROCPRIM_304000_NS17warp_store_methodE2EhEvPT3_S4_i,comdat
.Lfunc_end53:
	.size	_Z25warp_store_guarded_kernelILj1024ELj4ELj1ELN7rocprim17ROCPRIM_304000_NS17warp_store_methodE2EhEvPT3_S4_i, .Lfunc_end53-_Z25warp_store_guarded_kernelILj1024ELj4ELj1ELN7rocprim17ROCPRIM_304000_NS17warp_store_methodE2EhEvPT3_S4_i
                                        ; -- End function
	.section	.AMDGPU.csdata,"",@progbits
; Kernel info:
; codeLenInByte = 256
; NumSgprs: 8
; NumVgprs: 7
; ScratchSize: 0
; MemoryBound: 0
; FloatMode: 240
; IeeeMode: 1
; LDSByteSize: 0 bytes/workgroup (compile time only)
; SGPRBlocks: 0
; VGPRBlocks: 0
; NumSGPRsForWavesPerEU: 8
; NumVGPRsForWavesPerEU: 7
; Occupancy: 16
; WaveLimiterHint : 0
; COMPUTE_PGM_RSRC2:SCRATCH_EN: 0
; COMPUTE_PGM_RSRC2:USER_SGPR: 15
; COMPUTE_PGM_RSRC2:TRAP_HANDLER: 0
; COMPUTE_PGM_RSRC2:TGID_X_EN: 1
; COMPUTE_PGM_RSRC2:TGID_Y_EN: 0
; COMPUTE_PGM_RSRC2:TGID_Z_EN: 0
; COMPUTE_PGM_RSRC2:TIDIG_COMP_CNT: 0
	.section	.text._Z25warp_store_guarded_kernelILj1024ELj4ELj1ELN7rocprim17ROCPRIM_304000_NS17warp_store_methodE1EhEvPT3_S4_i,"axG",@progbits,_Z25warp_store_guarded_kernelILj1024ELj4ELj1ELN7rocprim17ROCPRIM_304000_NS17warp_store_methodE1EhEvPT3_S4_i,comdat
	.protected	_Z25warp_store_guarded_kernelILj1024ELj4ELj1ELN7rocprim17ROCPRIM_304000_NS17warp_store_methodE1EhEvPT3_S4_i ; -- Begin function _Z25warp_store_guarded_kernelILj1024ELj4ELj1ELN7rocprim17ROCPRIM_304000_NS17warp_store_methodE1EhEvPT3_S4_i
	.globl	_Z25warp_store_guarded_kernelILj1024ELj4ELj1ELN7rocprim17ROCPRIM_304000_NS17warp_store_methodE1EhEvPT3_S4_i
	.p2align	8
	.type	_Z25warp_store_guarded_kernelILj1024ELj4ELj1ELN7rocprim17ROCPRIM_304000_NS17warp_store_methodE1EhEvPT3_S4_i,@function
_Z25warp_store_guarded_kernelILj1024ELj4ELj1ELN7rocprim17ROCPRIM_304000_NS17warp_store_methodE1EhEvPT3_S4_i: ; @_Z25warp_store_guarded_kernelILj1024ELj4ELj1ELN7rocprim17ROCPRIM_304000_NS17warp_store_methodE1EhEvPT3_S4_i
; %bb.0:
	s_load_b128 s[4:7], s[0:1], 0x0
	v_lshlrev_b32_e32 v2, 2, v0
	s_load_b32 s0, s[0:1], 0x10
	s_waitcnt lgkmcnt(0)
	s_clause 0x1
	global_load_u16 v0, v2, s[4:5] offset:1
	global_load_u8 v3, v2, s[4:5] offset:3
	s_cmp_eq_u32 s0, 0
	s_waitcnt vmcnt(1)
	v_lshrrev_b32_e32 v1, 8, v0
	v_and_b32_e32 v0, 0xff, v0
	s_delay_alu instid0(VALU_DEP_2) | instskip(NEXT) | instid1(VALU_DEP_1)
	v_lshlrev_b16 v1, 8, v1
	v_or_b32_e32 v0, v0, v1
	s_delay_alu instid0(VALU_DEP_1) | instskip(SKIP_1) | instid1(VALU_DEP_1)
	v_and_b32_e32 v4, 0xffff, v0
	v_add_co_u32 v0, s1, s6, v2
	v_add_co_ci_u32_e64 v1, null, s7, 0, s1
	s_cbranch_scc1 .LBB54_2
; %bb.1:
	v_add_co_u32 v5, s1, s4, v2
	s_delay_alu instid0(VALU_DEP_1)
	v_add_co_ci_u32_e64 v6, null, s5, 0, s1
	global_load_u8 v2, v[5:6], off
	s_waitcnt vmcnt(0)
	global_store_b8 v[0:1], v2, off
.LBB54_2:
	s_waitcnt vmcnt(0)
	v_lshl_or_b32 v2, v3, 16, v4
	s_cmp_lt_u32 s0, 2
	s_cbranch_scc0 .LBB54_6
; %bb.3:
	s_cmp_lt_u32 s0, 3
	s_cbranch_scc0 .LBB54_7
.LBB54_4:
	s_cmp_lt_u32 s0, 4
	s_cbranch_scc0 .LBB54_8
.LBB54_5:
	s_nop 0
	s_sendmsg sendmsg(MSG_DEALLOC_VGPRS)
	s_endpgm
.LBB54_6:
	global_store_b8 v[0:1], v2, off offset:1
	s_cmp_lt_u32 s0, 3
	s_cbranch_scc1 .LBB54_4
.LBB54_7:
	v_lshrrev_b32_e32 v3, 8, v2
	global_store_b8 v[0:1], v3, off offset:2
	s_cmp_lt_u32 s0, 4
	s_cbranch_scc1 .LBB54_5
.LBB54_8:
	global_store_d16_hi_b8 v[0:1], v2, off offset:3
	s_nop 0
	s_sendmsg sendmsg(MSG_DEALLOC_VGPRS)
	s_endpgm
	.section	.rodata,"a",@progbits
	.p2align	6, 0x0
	.amdhsa_kernel _Z25warp_store_guarded_kernelILj1024ELj4ELj1ELN7rocprim17ROCPRIM_304000_NS17warp_store_methodE1EhEvPT3_S4_i
		.amdhsa_group_segment_fixed_size 0
		.amdhsa_private_segment_fixed_size 0
		.amdhsa_kernarg_size 20
		.amdhsa_user_sgpr_count 15
		.amdhsa_user_sgpr_dispatch_ptr 0
		.amdhsa_user_sgpr_queue_ptr 0
		.amdhsa_user_sgpr_kernarg_segment_ptr 1
		.amdhsa_user_sgpr_dispatch_id 0
		.amdhsa_user_sgpr_private_segment_size 0
		.amdhsa_wavefront_size32 1
		.amdhsa_uses_dynamic_stack 0
		.amdhsa_enable_private_segment 0
		.amdhsa_system_sgpr_workgroup_id_x 1
		.amdhsa_system_sgpr_workgroup_id_y 0
		.amdhsa_system_sgpr_workgroup_id_z 0
		.amdhsa_system_sgpr_workgroup_info 0
		.amdhsa_system_vgpr_workitem_id 0
		.amdhsa_next_free_vgpr 7
		.amdhsa_next_free_sgpr 8
		.amdhsa_reserve_vcc 0
		.amdhsa_float_round_mode_32 0
		.amdhsa_float_round_mode_16_64 0
		.amdhsa_float_denorm_mode_32 3
		.amdhsa_float_denorm_mode_16_64 3
		.amdhsa_dx10_clamp 1
		.amdhsa_ieee_mode 1
		.amdhsa_fp16_overflow 0
		.amdhsa_workgroup_processor_mode 1
		.amdhsa_memory_ordered 1
		.amdhsa_forward_progress 0
		.amdhsa_shared_vgpr_count 0
		.amdhsa_exception_fp_ieee_invalid_op 0
		.amdhsa_exception_fp_denorm_src 0
		.amdhsa_exception_fp_ieee_div_zero 0
		.amdhsa_exception_fp_ieee_overflow 0
		.amdhsa_exception_fp_ieee_underflow 0
		.amdhsa_exception_fp_ieee_inexact 0
		.amdhsa_exception_int_div_zero 0
	.end_amdhsa_kernel
	.section	.text._Z25warp_store_guarded_kernelILj1024ELj4ELj1ELN7rocprim17ROCPRIM_304000_NS17warp_store_methodE1EhEvPT3_S4_i,"axG",@progbits,_Z25warp_store_guarded_kernelILj1024ELj4ELj1ELN7rocprim17ROCPRIM_304000_NS17warp_store_methodE1EhEvPT3_S4_i,comdat
.Lfunc_end54:
	.size	_Z25warp_store_guarded_kernelILj1024ELj4ELj1ELN7rocprim17ROCPRIM_304000_NS17warp_store_methodE1EhEvPT3_S4_i, .Lfunc_end54-_Z25warp_store_guarded_kernelILj1024ELj4ELj1ELN7rocprim17ROCPRIM_304000_NS17warp_store_methodE1EhEvPT3_S4_i
                                        ; -- End function
	.section	.AMDGPU.csdata,"",@progbits
; Kernel info:
; codeLenInByte = 256
; NumSgprs: 8
; NumVgprs: 7
; ScratchSize: 0
; MemoryBound: 0
; FloatMode: 240
; IeeeMode: 1
; LDSByteSize: 0 bytes/workgroup (compile time only)
; SGPRBlocks: 0
; VGPRBlocks: 0
; NumSGPRsForWavesPerEU: 8
; NumVGPRsForWavesPerEU: 7
; Occupancy: 16
; WaveLimiterHint : 0
; COMPUTE_PGM_RSRC2:SCRATCH_EN: 0
; COMPUTE_PGM_RSRC2:USER_SGPR: 15
; COMPUTE_PGM_RSRC2:TRAP_HANDLER: 0
; COMPUTE_PGM_RSRC2:TGID_X_EN: 1
; COMPUTE_PGM_RSRC2:TGID_Y_EN: 0
; COMPUTE_PGM_RSRC2:TGID_Z_EN: 0
; COMPUTE_PGM_RSRC2:TIDIG_COMP_CNT: 0
	.section	.text._Z25warp_store_guarded_kernelILj1024ELj4ELj1ELN7rocprim17ROCPRIM_304000_NS17warp_store_methodE0EhEvPT3_S4_i,"axG",@progbits,_Z25warp_store_guarded_kernelILj1024ELj4ELj1ELN7rocprim17ROCPRIM_304000_NS17warp_store_methodE0EhEvPT3_S4_i,comdat
	.protected	_Z25warp_store_guarded_kernelILj1024ELj4ELj1ELN7rocprim17ROCPRIM_304000_NS17warp_store_methodE0EhEvPT3_S4_i ; -- Begin function _Z25warp_store_guarded_kernelILj1024ELj4ELj1ELN7rocprim17ROCPRIM_304000_NS17warp_store_methodE0EhEvPT3_S4_i
	.globl	_Z25warp_store_guarded_kernelILj1024ELj4ELj1ELN7rocprim17ROCPRIM_304000_NS17warp_store_methodE0EhEvPT3_S4_i
	.p2align	8
	.type	_Z25warp_store_guarded_kernelILj1024ELj4ELj1ELN7rocprim17ROCPRIM_304000_NS17warp_store_methodE0EhEvPT3_S4_i,@function
_Z25warp_store_guarded_kernelILj1024ELj4ELj1ELN7rocprim17ROCPRIM_304000_NS17warp_store_methodE0EhEvPT3_S4_i: ; @_Z25warp_store_guarded_kernelILj1024ELj4ELj1ELN7rocprim17ROCPRIM_304000_NS17warp_store_methodE0EhEvPT3_S4_i
; %bb.0:
	s_load_b128 s[4:7], s[0:1], 0x0
	v_lshlrev_b32_e32 v2, 2, v0
	s_load_b32 s0, s[0:1], 0x10
	s_waitcnt lgkmcnt(0)
	s_clause 0x1
	global_load_u16 v0, v2, s[4:5] offset:1
	global_load_u8 v3, v2, s[4:5] offset:3
	s_cmp_eq_u32 s0, 0
	s_waitcnt vmcnt(1)
	v_lshrrev_b32_e32 v1, 8, v0
	v_and_b32_e32 v0, 0xff, v0
	s_delay_alu instid0(VALU_DEP_2) | instskip(NEXT) | instid1(VALU_DEP_1)
	v_lshlrev_b16 v1, 8, v1
	v_or_b32_e32 v0, v0, v1
	s_delay_alu instid0(VALU_DEP_1) | instskip(SKIP_1) | instid1(VALU_DEP_1)
	v_and_b32_e32 v4, 0xffff, v0
	v_add_co_u32 v0, s1, s6, v2
	v_add_co_ci_u32_e64 v1, null, s7, 0, s1
	s_cbranch_scc1 .LBB55_2
; %bb.1:
	v_add_co_u32 v5, s1, s4, v2
	s_delay_alu instid0(VALU_DEP_1)
	v_add_co_ci_u32_e64 v6, null, s5, 0, s1
	global_load_u8 v2, v[5:6], off
	s_waitcnt vmcnt(0)
	global_store_b8 v[0:1], v2, off
.LBB55_2:
	s_waitcnt vmcnt(0)
	v_lshl_or_b32 v2, v3, 16, v4
	s_cmp_lt_u32 s0, 2
	s_cbranch_scc0 .LBB55_6
; %bb.3:
	s_cmp_lt_u32 s0, 3
	s_cbranch_scc0 .LBB55_7
.LBB55_4:
	s_cmp_lt_u32 s0, 4
	s_cbranch_scc0 .LBB55_8
.LBB55_5:
	s_nop 0
	s_sendmsg sendmsg(MSG_DEALLOC_VGPRS)
	s_endpgm
.LBB55_6:
	global_store_b8 v[0:1], v2, off offset:1
	s_cmp_lt_u32 s0, 3
	s_cbranch_scc1 .LBB55_4
.LBB55_7:
	v_lshrrev_b32_e32 v3, 8, v2
	global_store_b8 v[0:1], v3, off offset:2
	s_cmp_lt_u32 s0, 4
	s_cbranch_scc1 .LBB55_5
.LBB55_8:
	global_store_d16_hi_b8 v[0:1], v2, off offset:3
	s_nop 0
	s_sendmsg sendmsg(MSG_DEALLOC_VGPRS)
	s_endpgm
	.section	.rodata,"a",@progbits
	.p2align	6, 0x0
	.amdhsa_kernel _Z25warp_store_guarded_kernelILj1024ELj4ELj1ELN7rocprim17ROCPRIM_304000_NS17warp_store_methodE0EhEvPT3_S4_i
		.amdhsa_group_segment_fixed_size 0
		.amdhsa_private_segment_fixed_size 0
		.amdhsa_kernarg_size 20
		.amdhsa_user_sgpr_count 15
		.amdhsa_user_sgpr_dispatch_ptr 0
		.amdhsa_user_sgpr_queue_ptr 0
		.amdhsa_user_sgpr_kernarg_segment_ptr 1
		.amdhsa_user_sgpr_dispatch_id 0
		.amdhsa_user_sgpr_private_segment_size 0
		.amdhsa_wavefront_size32 1
		.amdhsa_uses_dynamic_stack 0
		.amdhsa_enable_private_segment 0
		.amdhsa_system_sgpr_workgroup_id_x 1
		.amdhsa_system_sgpr_workgroup_id_y 0
		.amdhsa_system_sgpr_workgroup_id_z 0
		.amdhsa_system_sgpr_workgroup_info 0
		.amdhsa_system_vgpr_workitem_id 0
		.amdhsa_next_free_vgpr 7
		.amdhsa_next_free_sgpr 8
		.amdhsa_reserve_vcc 0
		.amdhsa_float_round_mode_32 0
		.amdhsa_float_round_mode_16_64 0
		.amdhsa_float_denorm_mode_32 3
		.amdhsa_float_denorm_mode_16_64 3
		.amdhsa_dx10_clamp 1
		.amdhsa_ieee_mode 1
		.amdhsa_fp16_overflow 0
		.amdhsa_workgroup_processor_mode 1
		.amdhsa_memory_ordered 1
		.amdhsa_forward_progress 0
		.amdhsa_shared_vgpr_count 0
		.amdhsa_exception_fp_ieee_invalid_op 0
		.amdhsa_exception_fp_denorm_src 0
		.amdhsa_exception_fp_ieee_div_zero 0
		.amdhsa_exception_fp_ieee_overflow 0
		.amdhsa_exception_fp_ieee_underflow 0
		.amdhsa_exception_fp_ieee_inexact 0
		.amdhsa_exception_int_div_zero 0
	.end_amdhsa_kernel
	.section	.text._Z25warp_store_guarded_kernelILj1024ELj4ELj1ELN7rocprim17ROCPRIM_304000_NS17warp_store_methodE0EhEvPT3_S4_i,"axG",@progbits,_Z25warp_store_guarded_kernelILj1024ELj4ELj1ELN7rocprim17ROCPRIM_304000_NS17warp_store_methodE0EhEvPT3_S4_i,comdat
.Lfunc_end55:
	.size	_Z25warp_store_guarded_kernelILj1024ELj4ELj1ELN7rocprim17ROCPRIM_304000_NS17warp_store_methodE0EhEvPT3_S4_i, .Lfunc_end55-_Z25warp_store_guarded_kernelILj1024ELj4ELj1ELN7rocprim17ROCPRIM_304000_NS17warp_store_methodE0EhEvPT3_S4_i
                                        ; -- End function
	.section	.AMDGPU.csdata,"",@progbits
; Kernel info:
; codeLenInByte = 256
; NumSgprs: 8
; NumVgprs: 7
; ScratchSize: 0
; MemoryBound: 0
; FloatMode: 240
; IeeeMode: 1
; LDSByteSize: 0 bytes/workgroup (compile time only)
; SGPRBlocks: 0
; VGPRBlocks: 0
; NumSGPRsForWavesPerEU: 8
; NumVGPRsForWavesPerEU: 7
; Occupancy: 16
; WaveLimiterHint : 0
; COMPUTE_PGM_RSRC2:SCRATCH_EN: 0
; COMPUTE_PGM_RSRC2:USER_SGPR: 15
; COMPUTE_PGM_RSRC2:TRAP_HANDLER: 0
; COMPUTE_PGM_RSRC2:TGID_X_EN: 1
; COMPUTE_PGM_RSRC2:TGID_Y_EN: 0
; COMPUTE_PGM_RSRC2:TGID_Z_EN: 0
; COMPUTE_PGM_RSRC2:TIDIG_COMP_CNT: 0
	.section	.text._Z25warp_store_guarded_kernelILj1024ELj4ELj1ELN7rocprim17ROCPRIM_304000_NS17warp_store_methodE3EaEvPT3_S4_i,"axG",@progbits,_Z25warp_store_guarded_kernelILj1024ELj4ELj1ELN7rocprim17ROCPRIM_304000_NS17warp_store_methodE3EaEvPT3_S4_i,comdat
	.protected	_Z25warp_store_guarded_kernelILj1024ELj4ELj1ELN7rocprim17ROCPRIM_304000_NS17warp_store_methodE3EaEvPT3_S4_i ; -- Begin function _Z25warp_store_guarded_kernelILj1024ELj4ELj1ELN7rocprim17ROCPRIM_304000_NS17warp_store_methodE3EaEvPT3_S4_i
	.globl	_Z25warp_store_guarded_kernelILj1024ELj4ELj1ELN7rocprim17ROCPRIM_304000_NS17warp_store_methodE3EaEvPT3_S4_i
	.p2align	8
	.type	_Z25warp_store_guarded_kernelILj1024ELj4ELj1ELN7rocprim17ROCPRIM_304000_NS17warp_store_methodE3EaEvPT3_S4_i,@function
_Z25warp_store_guarded_kernelILj1024ELj4ELj1ELN7rocprim17ROCPRIM_304000_NS17warp_store_methodE3EaEvPT3_S4_i: ; @_Z25warp_store_guarded_kernelILj1024ELj4ELj1ELN7rocprim17ROCPRIM_304000_NS17warp_store_methodE3EaEvPT3_S4_i
; %bb.0:
	s_load_b128 s[4:7], s[0:1], 0x0
	v_lshlrev_b32_e32 v2, 2, v0
	s_load_b32 s0, s[0:1], 0x10
	s_waitcnt lgkmcnt(0)
	global_load_b32 v3, v2, s[4:5]
	v_add_co_u32 v0, s1, s6, v2
	s_delay_alu instid0(VALU_DEP_1)
	v_add_co_ci_u32_e64 v1, null, s7, 0, s1
	s_cmp_eq_u32 s0, 0
	s_waitcnt vmcnt(0)
	ds_store_b32 v2, v3
	; wave barrier
	s_cbranch_scc1 .LBB56_2
; %bb.1:
	ds_load_u8 v3, v2
	s_waitcnt lgkmcnt(0)
	global_store_b8 v[0:1], v3, off
.LBB56_2:
	s_cmp_lt_u32 s0, 2
	s_cbranch_scc0 .LBB56_6
; %bb.3:
	ds_load_u16 v2, v2 offset:2
	s_cmp_lt_u32 s0, 3
	s_cbranch_scc0 .LBB56_7
.LBB56_4:
	s_cmp_lt_u32 s0, 4
	s_cbranch_scc0 .LBB56_8
.LBB56_5:
	s_nop 0
	s_sendmsg sendmsg(MSG_DEALLOC_VGPRS)
	s_endpgm
.LBB56_6:
	ds_load_u8 v3, v2 offset:1
	s_waitcnt lgkmcnt(0)
	global_store_b8 v[0:1], v3, off offset:1
	ds_load_u16 v2, v2 offset:2
	s_cmp_lt_u32 s0, 3
	s_cbranch_scc1 .LBB56_4
.LBB56_7:
	s_waitcnt lgkmcnt(0)
	global_store_b8 v[0:1], v2, off offset:2
	s_cmp_lt_u32 s0, 4
	s_cbranch_scc1 .LBB56_5
.LBB56_8:
	s_waitcnt lgkmcnt(0)
	v_lshrrev_b16 v2, 8, v2
	global_store_b8 v[0:1], v2, off offset:3
	s_nop 0
	s_sendmsg sendmsg(MSG_DEALLOC_VGPRS)
	s_endpgm
	.section	.rodata,"a",@progbits
	.p2align	6, 0x0
	.amdhsa_kernel _Z25warp_store_guarded_kernelILj1024ELj4ELj1ELN7rocprim17ROCPRIM_304000_NS17warp_store_methodE3EaEvPT3_S4_i
		.amdhsa_group_segment_fixed_size 4096
		.amdhsa_private_segment_fixed_size 0
		.amdhsa_kernarg_size 20
		.amdhsa_user_sgpr_count 15
		.amdhsa_user_sgpr_dispatch_ptr 0
		.amdhsa_user_sgpr_queue_ptr 0
		.amdhsa_user_sgpr_kernarg_segment_ptr 1
		.amdhsa_user_sgpr_dispatch_id 0
		.amdhsa_user_sgpr_private_segment_size 0
		.amdhsa_wavefront_size32 1
		.amdhsa_uses_dynamic_stack 0
		.amdhsa_enable_private_segment 0
		.amdhsa_system_sgpr_workgroup_id_x 1
		.amdhsa_system_sgpr_workgroup_id_y 0
		.amdhsa_system_sgpr_workgroup_id_z 0
		.amdhsa_system_sgpr_workgroup_info 0
		.amdhsa_system_vgpr_workitem_id 0
		.amdhsa_next_free_vgpr 4
		.amdhsa_next_free_sgpr 8
		.amdhsa_reserve_vcc 0
		.amdhsa_float_round_mode_32 0
		.amdhsa_float_round_mode_16_64 0
		.amdhsa_float_denorm_mode_32 3
		.amdhsa_float_denorm_mode_16_64 3
		.amdhsa_dx10_clamp 1
		.amdhsa_ieee_mode 1
		.amdhsa_fp16_overflow 0
		.amdhsa_workgroup_processor_mode 1
		.amdhsa_memory_ordered 1
		.amdhsa_forward_progress 0
		.amdhsa_shared_vgpr_count 0
		.amdhsa_exception_fp_ieee_invalid_op 0
		.amdhsa_exception_fp_denorm_src 0
		.amdhsa_exception_fp_ieee_div_zero 0
		.amdhsa_exception_fp_ieee_overflow 0
		.amdhsa_exception_fp_ieee_underflow 0
		.amdhsa_exception_fp_ieee_inexact 0
		.amdhsa_exception_int_div_zero 0
	.end_amdhsa_kernel
	.section	.text._Z25warp_store_guarded_kernelILj1024ELj4ELj1ELN7rocprim17ROCPRIM_304000_NS17warp_store_methodE3EaEvPT3_S4_i,"axG",@progbits,_Z25warp_store_guarded_kernelILj1024ELj4ELj1ELN7rocprim17ROCPRIM_304000_NS17warp_store_methodE3EaEvPT3_S4_i,comdat
.Lfunc_end56:
	.size	_Z25warp_store_guarded_kernelILj1024ELj4ELj1ELN7rocprim17ROCPRIM_304000_NS17warp_store_methodE3EaEvPT3_S4_i, .Lfunc_end56-_Z25warp_store_guarded_kernelILj1024ELj4ELj1ELN7rocprim17ROCPRIM_304000_NS17warp_store_methodE3EaEvPT3_S4_i
                                        ; -- End function
	.section	.AMDGPU.csdata,"",@progbits
; Kernel info:
; codeLenInByte = 224
; NumSgprs: 8
; NumVgprs: 4
; ScratchSize: 0
; MemoryBound: 0
; FloatMode: 240
; IeeeMode: 1
; LDSByteSize: 4096 bytes/workgroup (compile time only)
; SGPRBlocks: 0
; VGPRBlocks: 0
; NumSGPRsForWavesPerEU: 8
; NumVGPRsForWavesPerEU: 4
; Occupancy: 16
; WaveLimiterHint : 0
; COMPUTE_PGM_RSRC2:SCRATCH_EN: 0
; COMPUTE_PGM_RSRC2:USER_SGPR: 15
; COMPUTE_PGM_RSRC2:TRAP_HANDLER: 0
; COMPUTE_PGM_RSRC2:TGID_X_EN: 1
; COMPUTE_PGM_RSRC2:TGID_Y_EN: 0
; COMPUTE_PGM_RSRC2:TGID_Z_EN: 0
; COMPUTE_PGM_RSRC2:TIDIG_COMP_CNT: 0
	.section	.text._Z25warp_store_guarded_kernelILj1024ELj4ELj1ELN7rocprim17ROCPRIM_304000_NS17warp_store_methodE2EaEvPT3_S4_i,"axG",@progbits,_Z25warp_store_guarded_kernelILj1024ELj4ELj1ELN7rocprim17ROCPRIM_304000_NS17warp_store_methodE2EaEvPT3_S4_i,comdat
	.protected	_Z25warp_store_guarded_kernelILj1024ELj4ELj1ELN7rocprim17ROCPRIM_304000_NS17warp_store_methodE2EaEvPT3_S4_i ; -- Begin function _Z25warp_store_guarded_kernelILj1024ELj4ELj1ELN7rocprim17ROCPRIM_304000_NS17warp_store_methodE2EaEvPT3_S4_i
	.globl	_Z25warp_store_guarded_kernelILj1024ELj4ELj1ELN7rocprim17ROCPRIM_304000_NS17warp_store_methodE2EaEvPT3_S4_i
	.p2align	8
	.type	_Z25warp_store_guarded_kernelILj1024ELj4ELj1ELN7rocprim17ROCPRIM_304000_NS17warp_store_methodE2EaEvPT3_S4_i,@function
_Z25warp_store_guarded_kernelILj1024ELj4ELj1ELN7rocprim17ROCPRIM_304000_NS17warp_store_methodE2EaEvPT3_S4_i: ; @_Z25warp_store_guarded_kernelILj1024ELj4ELj1ELN7rocprim17ROCPRIM_304000_NS17warp_store_methodE2EaEvPT3_S4_i
; %bb.0:
	s_load_b128 s[4:7], s[0:1], 0x0
	v_lshlrev_b32_e32 v2, 2, v0
	s_load_b32 s0, s[0:1], 0x10
	s_waitcnt lgkmcnt(0)
	s_clause 0x1
	global_load_u16 v0, v2, s[4:5] offset:1
	global_load_u8 v3, v2, s[4:5] offset:3
	s_cmp_eq_u32 s0, 0
	s_waitcnt vmcnt(1)
	v_lshrrev_b32_e32 v1, 8, v0
	v_and_b32_e32 v0, 0xff, v0
	s_delay_alu instid0(VALU_DEP_2) | instskip(NEXT) | instid1(VALU_DEP_1)
	v_lshlrev_b16 v1, 8, v1
	v_or_b32_e32 v0, v0, v1
	s_delay_alu instid0(VALU_DEP_1) | instskip(SKIP_1) | instid1(VALU_DEP_1)
	v_and_b32_e32 v4, 0xffff, v0
	v_add_co_u32 v0, s1, s6, v2
	v_add_co_ci_u32_e64 v1, null, s7, 0, s1
	s_cbranch_scc1 .LBB57_2
; %bb.1:
	v_add_co_u32 v5, s1, s4, v2
	s_delay_alu instid0(VALU_DEP_1)
	v_add_co_ci_u32_e64 v6, null, s5, 0, s1
	global_load_u8 v2, v[5:6], off
	s_waitcnt vmcnt(0)
	global_store_b8 v[0:1], v2, off
.LBB57_2:
	s_waitcnt vmcnt(0)
	v_lshl_or_b32 v2, v3, 16, v4
	s_cmp_lt_u32 s0, 2
	s_cbranch_scc0 .LBB57_6
; %bb.3:
	s_cmp_lt_u32 s0, 3
	s_cbranch_scc0 .LBB57_7
.LBB57_4:
	s_cmp_lt_u32 s0, 4
	s_cbranch_scc0 .LBB57_8
.LBB57_5:
	s_nop 0
	s_sendmsg sendmsg(MSG_DEALLOC_VGPRS)
	s_endpgm
.LBB57_6:
	global_store_b8 v[0:1], v2, off offset:1
	s_cmp_lt_u32 s0, 3
	s_cbranch_scc1 .LBB57_4
.LBB57_7:
	v_lshrrev_b32_e32 v3, 8, v2
	global_store_b8 v[0:1], v3, off offset:2
	s_cmp_lt_u32 s0, 4
	s_cbranch_scc1 .LBB57_5
.LBB57_8:
	global_store_d16_hi_b8 v[0:1], v2, off offset:3
	s_nop 0
	s_sendmsg sendmsg(MSG_DEALLOC_VGPRS)
	s_endpgm
	.section	.rodata,"a",@progbits
	.p2align	6, 0x0
	.amdhsa_kernel _Z25warp_store_guarded_kernelILj1024ELj4ELj1ELN7rocprim17ROCPRIM_304000_NS17warp_store_methodE2EaEvPT3_S4_i
		.amdhsa_group_segment_fixed_size 0
		.amdhsa_private_segment_fixed_size 0
		.amdhsa_kernarg_size 20
		.amdhsa_user_sgpr_count 15
		.amdhsa_user_sgpr_dispatch_ptr 0
		.amdhsa_user_sgpr_queue_ptr 0
		.amdhsa_user_sgpr_kernarg_segment_ptr 1
		.amdhsa_user_sgpr_dispatch_id 0
		.amdhsa_user_sgpr_private_segment_size 0
		.amdhsa_wavefront_size32 1
		.amdhsa_uses_dynamic_stack 0
		.amdhsa_enable_private_segment 0
		.amdhsa_system_sgpr_workgroup_id_x 1
		.amdhsa_system_sgpr_workgroup_id_y 0
		.amdhsa_system_sgpr_workgroup_id_z 0
		.amdhsa_system_sgpr_workgroup_info 0
		.amdhsa_system_vgpr_workitem_id 0
		.amdhsa_next_free_vgpr 7
		.amdhsa_next_free_sgpr 8
		.amdhsa_reserve_vcc 0
		.amdhsa_float_round_mode_32 0
		.amdhsa_float_round_mode_16_64 0
		.amdhsa_float_denorm_mode_32 3
		.amdhsa_float_denorm_mode_16_64 3
		.amdhsa_dx10_clamp 1
		.amdhsa_ieee_mode 1
		.amdhsa_fp16_overflow 0
		.amdhsa_workgroup_processor_mode 1
		.amdhsa_memory_ordered 1
		.amdhsa_forward_progress 0
		.amdhsa_shared_vgpr_count 0
		.amdhsa_exception_fp_ieee_invalid_op 0
		.amdhsa_exception_fp_denorm_src 0
		.amdhsa_exception_fp_ieee_div_zero 0
		.amdhsa_exception_fp_ieee_overflow 0
		.amdhsa_exception_fp_ieee_underflow 0
		.amdhsa_exception_fp_ieee_inexact 0
		.amdhsa_exception_int_div_zero 0
	.end_amdhsa_kernel
	.section	.text._Z25warp_store_guarded_kernelILj1024ELj4ELj1ELN7rocprim17ROCPRIM_304000_NS17warp_store_methodE2EaEvPT3_S4_i,"axG",@progbits,_Z25warp_store_guarded_kernelILj1024ELj4ELj1ELN7rocprim17ROCPRIM_304000_NS17warp_store_methodE2EaEvPT3_S4_i,comdat
.Lfunc_end57:
	.size	_Z25warp_store_guarded_kernelILj1024ELj4ELj1ELN7rocprim17ROCPRIM_304000_NS17warp_store_methodE2EaEvPT3_S4_i, .Lfunc_end57-_Z25warp_store_guarded_kernelILj1024ELj4ELj1ELN7rocprim17ROCPRIM_304000_NS17warp_store_methodE2EaEvPT3_S4_i
                                        ; -- End function
	.section	.AMDGPU.csdata,"",@progbits
; Kernel info:
; codeLenInByte = 256
; NumSgprs: 8
; NumVgprs: 7
; ScratchSize: 0
; MemoryBound: 0
; FloatMode: 240
; IeeeMode: 1
; LDSByteSize: 0 bytes/workgroup (compile time only)
; SGPRBlocks: 0
; VGPRBlocks: 0
; NumSGPRsForWavesPerEU: 8
; NumVGPRsForWavesPerEU: 7
; Occupancy: 16
; WaveLimiterHint : 0
; COMPUTE_PGM_RSRC2:SCRATCH_EN: 0
; COMPUTE_PGM_RSRC2:USER_SGPR: 15
; COMPUTE_PGM_RSRC2:TRAP_HANDLER: 0
; COMPUTE_PGM_RSRC2:TGID_X_EN: 1
; COMPUTE_PGM_RSRC2:TGID_Y_EN: 0
; COMPUTE_PGM_RSRC2:TGID_Z_EN: 0
; COMPUTE_PGM_RSRC2:TIDIG_COMP_CNT: 0
	.section	.text._Z25warp_store_guarded_kernelILj1024ELj4ELj1ELN7rocprim17ROCPRIM_304000_NS17warp_store_methodE1EaEvPT3_S4_i,"axG",@progbits,_Z25warp_store_guarded_kernelILj1024ELj4ELj1ELN7rocprim17ROCPRIM_304000_NS17warp_store_methodE1EaEvPT3_S4_i,comdat
	.protected	_Z25warp_store_guarded_kernelILj1024ELj4ELj1ELN7rocprim17ROCPRIM_304000_NS17warp_store_methodE1EaEvPT3_S4_i ; -- Begin function _Z25warp_store_guarded_kernelILj1024ELj4ELj1ELN7rocprim17ROCPRIM_304000_NS17warp_store_methodE1EaEvPT3_S4_i
	.globl	_Z25warp_store_guarded_kernelILj1024ELj4ELj1ELN7rocprim17ROCPRIM_304000_NS17warp_store_methodE1EaEvPT3_S4_i
	.p2align	8
	.type	_Z25warp_store_guarded_kernelILj1024ELj4ELj1ELN7rocprim17ROCPRIM_304000_NS17warp_store_methodE1EaEvPT3_S4_i,@function
_Z25warp_store_guarded_kernelILj1024ELj4ELj1ELN7rocprim17ROCPRIM_304000_NS17warp_store_methodE1EaEvPT3_S4_i: ; @_Z25warp_store_guarded_kernelILj1024ELj4ELj1ELN7rocprim17ROCPRIM_304000_NS17warp_store_methodE1EaEvPT3_S4_i
; %bb.0:
	s_load_b128 s[4:7], s[0:1], 0x0
	v_lshlrev_b32_e32 v2, 2, v0
	s_load_b32 s0, s[0:1], 0x10
	s_waitcnt lgkmcnt(0)
	s_clause 0x1
	global_load_u16 v0, v2, s[4:5] offset:1
	global_load_u8 v3, v2, s[4:5] offset:3
	s_cmp_eq_u32 s0, 0
	s_waitcnt vmcnt(1)
	v_lshrrev_b32_e32 v1, 8, v0
	v_and_b32_e32 v0, 0xff, v0
	s_delay_alu instid0(VALU_DEP_2) | instskip(NEXT) | instid1(VALU_DEP_1)
	v_lshlrev_b16 v1, 8, v1
	v_or_b32_e32 v0, v0, v1
	s_delay_alu instid0(VALU_DEP_1) | instskip(SKIP_1) | instid1(VALU_DEP_1)
	v_and_b32_e32 v4, 0xffff, v0
	v_add_co_u32 v0, s1, s6, v2
	v_add_co_ci_u32_e64 v1, null, s7, 0, s1
	s_cbranch_scc1 .LBB58_2
; %bb.1:
	v_add_co_u32 v5, s1, s4, v2
	s_delay_alu instid0(VALU_DEP_1)
	v_add_co_ci_u32_e64 v6, null, s5, 0, s1
	global_load_u8 v2, v[5:6], off
	s_waitcnt vmcnt(0)
	global_store_b8 v[0:1], v2, off
.LBB58_2:
	s_waitcnt vmcnt(0)
	v_lshl_or_b32 v2, v3, 16, v4
	s_cmp_lt_u32 s0, 2
	s_cbranch_scc0 .LBB58_6
; %bb.3:
	s_cmp_lt_u32 s0, 3
	s_cbranch_scc0 .LBB58_7
.LBB58_4:
	s_cmp_lt_u32 s0, 4
	s_cbranch_scc0 .LBB58_8
.LBB58_5:
	s_nop 0
	s_sendmsg sendmsg(MSG_DEALLOC_VGPRS)
	s_endpgm
.LBB58_6:
	global_store_b8 v[0:1], v2, off offset:1
	s_cmp_lt_u32 s0, 3
	s_cbranch_scc1 .LBB58_4
.LBB58_7:
	v_lshrrev_b32_e32 v3, 8, v2
	global_store_b8 v[0:1], v3, off offset:2
	s_cmp_lt_u32 s0, 4
	s_cbranch_scc1 .LBB58_5
.LBB58_8:
	global_store_d16_hi_b8 v[0:1], v2, off offset:3
	s_nop 0
	s_sendmsg sendmsg(MSG_DEALLOC_VGPRS)
	s_endpgm
	.section	.rodata,"a",@progbits
	.p2align	6, 0x0
	.amdhsa_kernel _Z25warp_store_guarded_kernelILj1024ELj4ELj1ELN7rocprim17ROCPRIM_304000_NS17warp_store_methodE1EaEvPT3_S4_i
		.amdhsa_group_segment_fixed_size 0
		.amdhsa_private_segment_fixed_size 0
		.amdhsa_kernarg_size 20
		.amdhsa_user_sgpr_count 15
		.amdhsa_user_sgpr_dispatch_ptr 0
		.amdhsa_user_sgpr_queue_ptr 0
		.amdhsa_user_sgpr_kernarg_segment_ptr 1
		.amdhsa_user_sgpr_dispatch_id 0
		.amdhsa_user_sgpr_private_segment_size 0
		.amdhsa_wavefront_size32 1
		.amdhsa_uses_dynamic_stack 0
		.amdhsa_enable_private_segment 0
		.amdhsa_system_sgpr_workgroup_id_x 1
		.amdhsa_system_sgpr_workgroup_id_y 0
		.amdhsa_system_sgpr_workgroup_id_z 0
		.amdhsa_system_sgpr_workgroup_info 0
		.amdhsa_system_vgpr_workitem_id 0
		.amdhsa_next_free_vgpr 7
		.amdhsa_next_free_sgpr 8
		.amdhsa_reserve_vcc 0
		.amdhsa_float_round_mode_32 0
		.amdhsa_float_round_mode_16_64 0
		.amdhsa_float_denorm_mode_32 3
		.amdhsa_float_denorm_mode_16_64 3
		.amdhsa_dx10_clamp 1
		.amdhsa_ieee_mode 1
		.amdhsa_fp16_overflow 0
		.amdhsa_workgroup_processor_mode 1
		.amdhsa_memory_ordered 1
		.amdhsa_forward_progress 0
		.amdhsa_shared_vgpr_count 0
		.amdhsa_exception_fp_ieee_invalid_op 0
		.amdhsa_exception_fp_denorm_src 0
		.amdhsa_exception_fp_ieee_div_zero 0
		.amdhsa_exception_fp_ieee_overflow 0
		.amdhsa_exception_fp_ieee_underflow 0
		.amdhsa_exception_fp_ieee_inexact 0
		.amdhsa_exception_int_div_zero 0
	.end_amdhsa_kernel
	.section	.text._Z25warp_store_guarded_kernelILj1024ELj4ELj1ELN7rocprim17ROCPRIM_304000_NS17warp_store_methodE1EaEvPT3_S4_i,"axG",@progbits,_Z25warp_store_guarded_kernelILj1024ELj4ELj1ELN7rocprim17ROCPRIM_304000_NS17warp_store_methodE1EaEvPT3_S4_i,comdat
.Lfunc_end58:
	.size	_Z25warp_store_guarded_kernelILj1024ELj4ELj1ELN7rocprim17ROCPRIM_304000_NS17warp_store_methodE1EaEvPT3_S4_i, .Lfunc_end58-_Z25warp_store_guarded_kernelILj1024ELj4ELj1ELN7rocprim17ROCPRIM_304000_NS17warp_store_methodE1EaEvPT3_S4_i
                                        ; -- End function
	.section	.AMDGPU.csdata,"",@progbits
; Kernel info:
; codeLenInByte = 256
; NumSgprs: 8
; NumVgprs: 7
; ScratchSize: 0
; MemoryBound: 0
; FloatMode: 240
; IeeeMode: 1
; LDSByteSize: 0 bytes/workgroup (compile time only)
; SGPRBlocks: 0
; VGPRBlocks: 0
; NumSGPRsForWavesPerEU: 8
; NumVGPRsForWavesPerEU: 7
; Occupancy: 16
; WaveLimiterHint : 0
; COMPUTE_PGM_RSRC2:SCRATCH_EN: 0
; COMPUTE_PGM_RSRC2:USER_SGPR: 15
; COMPUTE_PGM_RSRC2:TRAP_HANDLER: 0
; COMPUTE_PGM_RSRC2:TGID_X_EN: 1
; COMPUTE_PGM_RSRC2:TGID_Y_EN: 0
; COMPUTE_PGM_RSRC2:TGID_Z_EN: 0
; COMPUTE_PGM_RSRC2:TIDIG_COMP_CNT: 0
	.section	.text._Z25warp_store_guarded_kernelILj1024ELj4ELj1ELN7rocprim17ROCPRIM_304000_NS17warp_store_methodE0EaEvPT3_S4_i,"axG",@progbits,_Z25warp_store_guarded_kernelILj1024ELj4ELj1ELN7rocprim17ROCPRIM_304000_NS17warp_store_methodE0EaEvPT3_S4_i,comdat
	.protected	_Z25warp_store_guarded_kernelILj1024ELj4ELj1ELN7rocprim17ROCPRIM_304000_NS17warp_store_methodE0EaEvPT3_S4_i ; -- Begin function _Z25warp_store_guarded_kernelILj1024ELj4ELj1ELN7rocprim17ROCPRIM_304000_NS17warp_store_methodE0EaEvPT3_S4_i
	.globl	_Z25warp_store_guarded_kernelILj1024ELj4ELj1ELN7rocprim17ROCPRIM_304000_NS17warp_store_methodE0EaEvPT3_S4_i
	.p2align	8
	.type	_Z25warp_store_guarded_kernelILj1024ELj4ELj1ELN7rocprim17ROCPRIM_304000_NS17warp_store_methodE0EaEvPT3_S4_i,@function
_Z25warp_store_guarded_kernelILj1024ELj4ELj1ELN7rocprim17ROCPRIM_304000_NS17warp_store_methodE0EaEvPT3_S4_i: ; @_Z25warp_store_guarded_kernelILj1024ELj4ELj1ELN7rocprim17ROCPRIM_304000_NS17warp_store_methodE0EaEvPT3_S4_i
; %bb.0:
	s_load_b128 s[4:7], s[0:1], 0x0
	v_lshlrev_b32_e32 v2, 2, v0
	s_load_b32 s0, s[0:1], 0x10
	s_waitcnt lgkmcnt(0)
	s_clause 0x1
	global_load_u16 v0, v2, s[4:5] offset:1
	global_load_u8 v3, v2, s[4:5] offset:3
	s_cmp_eq_u32 s0, 0
	s_waitcnt vmcnt(1)
	v_lshrrev_b32_e32 v1, 8, v0
	v_and_b32_e32 v0, 0xff, v0
	s_delay_alu instid0(VALU_DEP_2) | instskip(NEXT) | instid1(VALU_DEP_1)
	v_lshlrev_b16 v1, 8, v1
	v_or_b32_e32 v0, v0, v1
	s_delay_alu instid0(VALU_DEP_1) | instskip(SKIP_1) | instid1(VALU_DEP_1)
	v_and_b32_e32 v4, 0xffff, v0
	v_add_co_u32 v0, s1, s6, v2
	v_add_co_ci_u32_e64 v1, null, s7, 0, s1
	s_cbranch_scc1 .LBB59_2
; %bb.1:
	v_add_co_u32 v5, s1, s4, v2
	s_delay_alu instid0(VALU_DEP_1)
	v_add_co_ci_u32_e64 v6, null, s5, 0, s1
	global_load_u8 v2, v[5:6], off
	s_waitcnt vmcnt(0)
	global_store_b8 v[0:1], v2, off
.LBB59_2:
	s_waitcnt vmcnt(0)
	v_lshl_or_b32 v2, v3, 16, v4
	s_cmp_lt_u32 s0, 2
	s_cbranch_scc0 .LBB59_6
; %bb.3:
	s_cmp_lt_u32 s0, 3
	s_cbranch_scc0 .LBB59_7
.LBB59_4:
	s_cmp_lt_u32 s0, 4
	s_cbranch_scc0 .LBB59_8
.LBB59_5:
	s_nop 0
	s_sendmsg sendmsg(MSG_DEALLOC_VGPRS)
	s_endpgm
.LBB59_6:
	global_store_b8 v[0:1], v2, off offset:1
	s_cmp_lt_u32 s0, 3
	s_cbranch_scc1 .LBB59_4
.LBB59_7:
	v_lshrrev_b32_e32 v3, 8, v2
	global_store_b8 v[0:1], v3, off offset:2
	s_cmp_lt_u32 s0, 4
	s_cbranch_scc1 .LBB59_5
.LBB59_8:
	global_store_d16_hi_b8 v[0:1], v2, off offset:3
	s_nop 0
	s_sendmsg sendmsg(MSG_DEALLOC_VGPRS)
	s_endpgm
	.section	.rodata,"a",@progbits
	.p2align	6, 0x0
	.amdhsa_kernel _Z25warp_store_guarded_kernelILj1024ELj4ELj1ELN7rocprim17ROCPRIM_304000_NS17warp_store_methodE0EaEvPT3_S4_i
		.amdhsa_group_segment_fixed_size 0
		.amdhsa_private_segment_fixed_size 0
		.amdhsa_kernarg_size 20
		.amdhsa_user_sgpr_count 15
		.amdhsa_user_sgpr_dispatch_ptr 0
		.amdhsa_user_sgpr_queue_ptr 0
		.amdhsa_user_sgpr_kernarg_segment_ptr 1
		.amdhsa_user_sgpr_dispatch_id 0
		.amdhsa_user_sgpr_private_segment_size 0
		.amdhsa_wavefront_size32 1
		.amdhsa_uses_dynamic_stack 0
		.amdhsa_enable_private_segment 0
		.amdhsa_system_sgpr_workgroup_id_x 1
		.amdhsa_system_sgpr_workgroup_id_y 0
		.amdhsa_system_sgpr_workgroup_id_z 0
		.amdhsa_system_sgpr_workgroup_info 0
		.amdhsa_system_vgpr_workitem_id 0
		.amdhsa_next_free_vgpr 7
		.amdhsa_next_free_sgpr 8
		.amdhsa_reserve_vcc 0
		.amdhsa_float_round_mode_32 0
		.amdhsa_float_round_mode_16_64 0
		.amdhsa_float_denorm_mode_32 3
		.amdhsa_float_denorm_mode_16_64 3
		.amdhsa_dx10_clamp 1
		.amdhsa_ieee_mode 1
		.amdhsa_fp16_overflow 0
		.amdhsa_workgroup_processor_mode 1
		.amdhsa_memory_ordered 1
		.amdhsa_forward_progress 0
		.amdhsa_shared_vgpr_count 0
		.amdhsa_exception_fp_ieee_invalid_op 0
		.amdhsa_exception_fp_denorm_src 0
		.amdhsa_exception_fp_ieee_div_zero 0
		.amdhsa_exception_fp_ieee_overflow 0
		.amdhsa_exception_fp_ieee_underflow 0
		.amdhsa_exception_fp_ieee_inexact 0
		.amdhsa_exception_int_div_zero 0
	.end_amdhsa_kernel
	.section	.text._Z25warp_store_guarded_kernelILj1024ELj4ELj1ELN7rocprim17ROCPRIM_304000_NS17warp_store_methodE0EaEvPT3_S4_i,"axG",@progbits,_Z25warp_store_guarded_kernelILj1024ELj4ELj1ELN7rocprim17ROCPRIM_304000_NS17warp_store_methodE0EaEvPT3_S4_i,comdat
.Lfunc_end59:
	.size	_Z25warp_store_guarded_kernelILj1024ELj4ELj1ELN7rocprim17ROCPRIM_304000_NS17warp_store_methodE0EaEvPT3_S4_i, .Lfunc_end59-_Z25warp_store_guarded_kernelILj1024ELj4ELj1ELN7rocprim17ROCPRIM_304000_NS17warp_store_methodE0EaEvPT3_S4_i
                                        ; -- End function
	.section	.AMDGPU.csdata,"",@progbits
; Kernel info:
; codeLenInByte = 256
; NumSgprs: 8
; NumVgprs: 7
; ScratchSize: 0
; MemoryBound: 0
; FloatMode: 240
; IeeeMode: 1
; LDSByteSize: 0 bytes/workgroup (compile time only)
; SGPRBlocks: 0
; VGPRBlocks: 0
; NumSGPRsForWavesPerEU: 8
; NumVGPRsForWavesPerEU: 7
; Occupancy: 16
; WaveLimiterHint : 0
; COMPUTE_PGM_RSRC2:SCRATCH_EN: 0
; COMPUTE_PGM_RSRC2:USER_SGPR: 15
; COMPUTE_PGM_RSRC2:TRAP_HANDLER: 0
; COMPUTE_PGM_RSRC2:TGID_X_EN: 1
; COMPUTE_PGM_RSRC2:TGID_Y_EN: 0
; COMPUTE_PGM_RSRC2:TGID_Z_EN: 0
; COMPUTE_PGM_RSRC2:TIDIG_COMP_CNT: 0
	.section	.text._Z25warp_store_guarded_kernelILj1024ELj4ELj32ELN7rocprim17ROCPRIM_304000_NS17warp_store_methodE3E15HIP_vector_typeIfLj2EEEvPT3_S6_i,"axG",@progbits,_Z25warp_store_guarded_kernelILj1024ELj4ELj32ELN7rocprim17ROCPRIM_304000_NS17warp_store_methodE3E15HIP_vector_typeIfLj2EEEvPT3_S6_i,comdat
	.protected	_Z25warp_store_guarded_kernelILj1024ELj4ELj32ELN7rocprim17ROCPRIM_304000_NS17warp_store_methodE3E15HIP_vector_typeIfLj2EEEvPT3_S6_i ; -- Begin function _Z25warp_store_guarded_kernelILj1024ELj4ELj32ELN7rocprim17ROCPRIM_304000_NS17warp_store_methodE3E15HIP_vector_typeIfLj2EEEvPT3_S6_i
	.globl	_Z25warp_store_guarded_kernelILj1024ELj4ELj32ELN7rocprim17ROCPRIM_304000_NS17warp_store_methodE3E15HIP_vector_typeIfLj2EEEvPT3_S6_i
	.p2align	8
	.type	_Z25warp_store_guarded_kernelILj1024ELj4ELj32ELN7rocprim17ROCPRIM_304000_NS17warp_store_methodE3E15HIP_vector_typeIfLj2EEEvPT3_S6_i,@function
_Z25warp_store_guarded_kernelILj1024ELj4ELj32ELN7rocprim17ROCPRIM_304000_NS17warp_store_methodE3E15HIP_vector_typeIfLj2EEEvPT3_S6_i: ; @_Z25warp_store_guarded_kernelILj1024ELj4ELj32ELN7rocprim17ROCPRIM_304000_NS17warp_store_methodE3E15HIP_vector_typeIfLj2EEEvPT3_S6_i
; %bb.0:
	s_load_b128 s[4:7], s[0:1], 0x0
	v_lshlrev_b32_e32 v9, 5, v0
	v_mbcnt_lo_u32_b32 v8, -1, 0
	s_load_b32 s0, s[0:1], 0x10
	s_waitcnt lgkmcnt(0)
	s_clause 0x1
	global_load_b128 v[0:3], v9, s[4:5]
	global_load_b128 v[4:7], v9, s[4:5] offset:16
	v_and_b32_e32 v10, 0x7c00, v9
	v_lshlrev_b32_e32 v11, 3, v8
	s_delay_alu instid0(VALU_DEP_2) | instskip(NEXT) | instid1(VALU_DEP_2)
	v_lshl_or_b32 v12, v8, 5, v10
	v_or_b32_e32 v9, v10, v11
	s_waitcnt vmcnt(1)
	ds_store_b128 v12, v[0:3]
	s_waitcnt vmcnt(0)
	ds_store_b128 v12, v[4:7] offset:16
	; wave barrier
	ds_load_2addr_b64 v[0:3], v9 offset0:32 offset1:64
	ds_load_b64 v[4:5], v9 offset:768
	v_add_co_u32 v6, s1, s6, v10
	s_delay_alu instid0(VALU_DEP_1) | instskip(SKIP_1) | instid1(VALU_DEP_2)
	v_add_co_ci_u32_e64 v7, null, s7, 0, s1
	s_mov_b32 s1, exec_lo
	v_add_co_u32 v6, vcc_lo, v6, v11
	s_delay_alu instid0(VALU_DEP_2)
	v_add_co_ci_u32_e32 v7, vcc_lo, 0, v7, vcc_lo
	v_cmpx_gt_u32_e64 s0, v8
	s_cbranch_execz .LBB60_2
; %bb.1:
	ds_load_b64 v[9:10], v9
	s_waitcnt lgkmcnt(0)
	global_store_b64 v[6:7], v[9:10], off
.LBB60_2:
	s_or_b32 exec_lo, exec_lo, s1
	v_or_b32_e32 v9, 32, v8
	s_mov_b32 s1, exec_lo
	s_delay_alu instid0(VALU_DEP_1)
	v_cmpx_gt_u32_e64 s0, v9
	s_cbranch_execz .LBB60_4
; %bb.3:
	s_waitcnt lgkmcnt(1)
	global_store_b64 v[6:7], v[0:1], off offset:256
.LBB60_4:
	s_or_b32 exec_lo, exec_lo, s1
	s_waitcnt lgkmcnt(1)
	v_or_b32_e32 v0, 64, v8
	s_mov_b32 s1, exec_lo
	s_delay_alu instid0(VALU_DEP_1)
	v_cmpx_gt_u32_e64 s0, v0
	s_cbranch_execz .LBB60_6
; %bb.5:
	global_store_b64 v[6:7], v[2:3], off offset:512
.LBB60_6:
	s_or_b32 exec_lo, exec_lo, s1
	v_or_b32_e32 v0, 0x60, v8
	s_delay_alu instid0(VALU_DEP_1)
	v_cmp_gt_u32_e32 vcc_lo, s0, v0
	s_and_saveexec_b32 s0, vcc_lo
	s_cbranch_execz .LBB60_8
; %bb.7:
	s_waitcnt lgkmcnt(0)
	global_store_b64 v[6:7], v[4:5], off offset:768
.LBB60_8:
	s_nop 0
	s_sendmsg sendmsg(MSG_DEALLOC_VGPRS)
	s_endpgm
	.section	.rodata,"a",@progbits
	.p2align	6, 0x0
	.amdhsa_kernel _Z25warp_store_guarded_kernelILj1024ELj4ELj32ELN7rocprim17ROCPRIM_304000_NS17warp_store_methodE3E15HIP_vector_typeIfLj2EEEvPT3_S6_i
		.amdhsa_group_segment_fixed_size 32768
		.amdhsa_private_segment_fixed_size 0
		.amdhsa_kernarg_size 20
		.amdhsa_user_sgpr_count 15
		.amdhsa_user_sgpr_dispatch_ptr 0
		.amdhsa_user_sgpr_queue_ptr 0
		.amdhsa_user_sgpr_kernarg_segment_ptr 1
		.amdhsa_user_sgpr_dispatch_id 0
		.amdhsa_user_sgpr_private_segment_size 0
		.amdhsa_wavefront_size32 1
		.amdhsa_uses_dynamic_stack 0
		.amdhsa_enable_private_segment 0
		.amdhsa_system_sgpr_workgroup_id_x 1
		.amdhsa_system_sgpr_workgroup_id_y 0
		.amdhsa_system_sgpr_workgroup_id_z 0
		.amdhsa_system_sgpr_workgroup_info 0
		.amdhsa_system_vgpr_workitem_id 0
		.amdhsa_next_free_vgpr 13
		.amdhsa_next_free_sgpr 8
		.amdhsa_reserve_vcc 1
		.amdhsa_float_round_mode_32 0
		.amdhsa_float_round_mode_16_64 0
		.amdhsa_float_denorm_mode_32 3
		.amdhsa_float_denorm_mode_16_64 3
		.amdhsa_dx10_clamp 1
		.amdhsa_ieee_mode 1
		.amdhsa_fp16_overflow 0
		.amdhsa_workgroup_processor_mode 1
		.amdhsa_memory_ordered 1
		.amdhsa_forward_progress 0
		.amdhsa_shared_vgpr_count 0
		.amdhsa_exception_fp_ieee_invalid_op 0
		.amdhsa_exception_fp_denorm_src 0
		.amdhsa_exception_fp_ieee_div_zero 0
		.amdhsa_exception_fp_ieee_overflow 0
		.amdhsa_exception_fp_ieee_underflow 0
		.amdhsa_exception_fp_ieee_inexact 0
		.amdhsa_exception_int_div_zero 0
	.end_amdhsa_kernel
	.section	.text._Z25warp_store_guarded_kernelILj1024ELj4ELj32ELN7rocprim17ROCPRIM_304000_NS17warp_store_methodE3E15HIP_vector_typeIfLj2EEEvPT3_S6_i,"axG",@progbits,_Z25warp_store_guarded_kernelILj1024ELj4ELj32ELN7rocprim17ROCPRIM_304000_NS17warp_store_methodE3E15HIP_vector_typeIfLj2EEEvPT3_S6_i,comdat
.Lfunc_end60:
	.size	_Z25warp_store_guarded_kernelILj1024ELj4ELj32ELN7rocprim17ROCPRIM_304000_NS17warp_store_methodE3E15HIP_vector_typeIfLj2EEEvPT3_S6_i, .Lfunc_end60-_Z25warp_store_guarded_kernelILj1024ELj4ELj32ELN7rocprim17ROCPRIM_304000_NS17warp_store_methodE3E15HIP_vector_typeIfLj2EEEvPT3_S6_i
                                        ; -- End function
	.section	.AMDGPU.csdata,"",@progbits
; Kernel info:
; codeLenInByte = 324
; NumSgprs: 10
; NumVgprs: 13
; ScratchSize: 0
; MemoryBound: 0
; FloatMode: 240
; IeeeMode: 1
; LDSByteSize: 32768 bytes/workgroup (compile time only)
; SGPRBlocks: 1
; VGPRBlocks: 1
; NumSGPRsForWavesPerEU: 10
; NumVGPRsForWavesPerEU: 13
; Occupancy: 16
; WaveLimiterHint : 0
; COMPUTE_PGM_RSRC2:SCRATCH_EN: 0
; COMPUTE_PGM_RSRC2:USER_SGPR: 15
; COMPUTE_PGM_RSRC2:TRAP_HANDLER: 0
; COMPUTE_PGM_RSRC2:TGID_X_EN: 1
; COMPUTE_PGM_RSRC2:TGID_Y_EN: 0
; COMPUTE_PGM_RSRC2:TGID_Z_EN: 0
; COMPUTE_PGM_RSRC2:TIDIG_COMP_CNT: 0
	.section	.text._Z25warp_store_guarded_kernelILj1024ELj4ELj32ELN7rocprim17ROCPRIM_304000_NS17warp_store_methodE2E15HIP_vector_typeIfLj2EEEvPT3_S6_i,"axG",@progbits,_Z25warp_store_guarded_kernelILj1024ELj4ELj32ELN7rocprim17ROCPRIM_304000_NS17warp_store_methodE2E15HIP_vector_typeIfLj2EEEvPT3_S6_i,comdat
	.protected	_Z25warp_store_guarded_kernelILj1024ELj4ELj32ELN7rocprim17ROCPRIM_304000_NS17warp_store_methodE2E15HIP_vector_typeIfLj2EEEvPT3_S6_i ; -- Begin function _Z25warp_store_guarded_kernelILj1024ELj4ELj32ELN7rocprim17ROCPRIM_304000_NS17warp_store_methodE2E15HIP_vector_typeIfLj2EEEvPT3_S6_i
	.globl	_Z25warp_store_guarded_kernelILj1024ELj4ELj32ELN7rocprim17ROCPRIM_304000_NS17warp_store_methodE2E15HIP_vector_typeIfLj2EEEvPT3_S6_i
	.p2align	8
	.type	_Z25warp_store_guarded_kernelILj1024ELj4ELj32ELN7rocprim17ROCPRIM_304000_NS17warp_store_methodE2E15HIP_vector_typeIfLj2EEEvPT3_S6_i,@function
_Z25warp_store_guarded_kernelILj1024ELj4ELj32ELN7rocprim17ROCPRIM_304000_NS17warp_store_methodE2E15HIP_vector_typeIfLj2EEEvPT3_S6_i: ; @_Z25warp_store_guarded_kernelILj1024ELj4ELj32ELN7rocprim17ROCPRIM_304000_NS17warp_store_methodE2E15HIP_vector_typeIfLj2EEEvPT3_S6_i
; %bb.0:
	s_load_b128 s[4:7], s[0:1], 0x0
	v_lshlrev_b32_e32 v9, 5, v0
	s_load_b32 s0, s[0:1], 0x10
	v_mbcnt_lo_u32_b32 v6, -1, 0
	s_waitcnt lgkmcnt(0)
	s_clause 0x1
	global_load_b64 v[4:5], v9, s[4:5] offset:24
	global_load_b128 v[0:3], v9, s[4:5] offset:8
	v_and_b32_e32 v7, 0x7c00, v9
	v_lshlrev_b32_e32 v10, 5, v6
	v_lshlrev_b32_e32 v8, 2, v6
	s_delay_alu instid0(VALU_DEP_3) | instskip(NEXT) | instid1(VALU_DEP_1)
	v_add_co_u32 v7, s1, s6, v7
	v_add_co_ci_u32_e64 v11, null, s7, 0, s1
	s_mov_b32 s1, exec_lo
	s_delay_alu instid0(VALU_DEP_2) | instskip(NEXT) | instid1(VALU_DEP_2)
	v_add_co_u32 v6, vcc_lo, v7, v10
	v_add_co_ci_u32_e32 v7, vcc_lo, 0, v11, vcc_lo
	v_cmpx_gt_u32_e64 s0, v8
	s_cbranch_execz .LBB61_2
; %bb.1:
	v_add_co_u32 v9, s2, s4, v9
	s_delay_alu instid0(VALU_DEP_1)
	v_add_co_ci_u32_e64 v10, null, s5, 0, s2
	global_load_b64 v[9:10], v[9:10], off
	s_waitcnt vmcnt(0)
	global_store_b64 v[6:7], v[9:10], off
.LBB61_2:
	s_or_b32 exec_lo, exec_lo, s1
	v_or_b32_e32 v9, 1, v8
	s_mov_b32 s1, exec_lo
	s_delay_alu instid0(VALU_DEP_1)
	v_cmpx_gt_u32_e64 s0, v9
	s_cbranch_execz .LBB61_4
; %bb.3:
	s_waitcnt vmcnt(0)
	global_store_b64 v[6:7], v[0:1], off offset:8
.LBB61_4:
	s_or_b32 exec_lo, exec_lo, s1
	s_waitcnt vmcnt(0)
	v_or_b32_e32 v0, 2, v8
	s_mov_b32 s1, exec_lo
	s_delay_alu instid0(VALU_DEP_1)
	v_cmpx_gt_u32_e64 s0, v0
	s_cbranch_execz .LBB61_6
; %bb.5:
	global_store_b64 v[6:7], v[2:3], off offset:16
.LBB61_6:
	s_or_b32 exec_lo, exec_lo, s1
	v_or_b32_e32 v0, 3, v8
	s_delay_alu instid0(VALU_DEP_1)
	v_cmp_gt_u32_e32 vcc_lo, s0, v0
	s_and_saveexec_b32 s0, vcc_lo
	s_cbranch_execz .LBB61_8
; %bb.7:
	global_store_b64 v[6:7], v[4:5], off offset:24
.LBB61_8:
	s_nop 0
	s_sendmsg sendmsg(MSG_DEALLOC_VGPRS)
	s_endpgm
	.section	.rodata,"a",@progbits
	.p2align	6, 0x0
	.amdhsa_kernel _Z25warp_store_guarded_kernelILj1024ELj4ELj32ELN7rocprim17ROCPRIM_304000_NS17warp_store_methodE2E15HIP_vector_typeIfLj2EEEvPT3_S6_i
		.amdhsa_group_segment_fixed_size 0
		.amdhsa_private_segment_fixed_size 0
		.amdhsa_kernarg_size 20
		.amdhsa_user_sgpr_count 15
		.amdhsa_user_sgpr_dispatch_ptr 0
		.amdhsa_user_sgpr_queue_ptr 0
		.amdhsa_user_sgpr_kernarg_segment_ptr 1
		.amdhsa_user_sgpr_dispatch_id 0
		.amdhsa_user_sgpr_private_segment_size 0
		.amdhsa_wavefront_size32 1
		.amdhsa_uses_dynamic_stack 0
		.amdhsa_enable_private_segment 0
		.amdhsa_system_sgpr_workgroup_id_x 1
		.amdhsa_system_sgpr_workgroup_id_y 0
		.amdhsa_system_sgpr_workgroup_id_z 0
		.amdhsa_system_sgpr_workgroup_info 0
		.amdhsa_system_vgpr_workitem_id 0
		.amdhsa_next_free_vgpr 12
		.amdhsa_next_free_sgpr 8
		.amdhsa_reserve_vcc 1
		.amdhsa_float_round_mode_32 0
		.amdhsa_float_round_mode_16_64 0
		.amdhsa_float_denorm_mode_32 3
		.amdhsa_float_denorm_mode_16_64 3
		.amdhsa_dx10_clamp 1
		.amdhsa_ieee_mode 1
		.amdhsa_fp16_overflow 0
		.amdhsa_workgroup_processor_mode 1
		.amdhsa_memory_ordered 1
		.amdhsa_forward_progress 0
		.amdhsa_shared_vgpr_count 0
		.amdhsa_exception_fp_ieee_invalid_op 0
		.amdhsa_exception_fp_denorm_src 0
		.amdhsa_exception_fp_ieee_div_zero 0
		.amdhsa_exception_fp_ieee_overflow 0
		.amdhsa_exception_fp_ieee_underflow 0
		.amdhsa_exception_fp_ieee_inexact 0
		.amdhsa_exception_int_div_zero 0
	.end_amdhsa_kernel
	.section	.text._Z25warp_store_guarded_kernelILj1024ELj4ELj32ELN7rocprim17ROCPRIM_304000_NS17warp_store_methodE2E15HIP_vector_typeIfLj2EEEvPT3_S6_i,"axG",@progbits,_Z25warp_store_guarded_kernelILj1024ELj4ELj32ELN7rocprim17ROCPRIM_304000_NS17warp_store_methodE2E15HIP_vector_typeIfLj2EEEvPT3_S6_i,comdat
.Lfunc_end61:
	.size	_Z25warp_store_guarded_kernelILj1024ELj4ELj32ELN7rocprim17ROCPRIM_304000_NS17warp_store_methodE2E15HIP_vector_typeIfLj2EEEvPT3_S6_i, .Lfunc_end61-_Z25warp_store_guarded_kernelILj1024ELj4ELj32ELN7rocprim17ROCPRIM_304000_NS17warp_store_methodE2E15HIP_vector_typeIfLj2EEEvPT3_S6_i
                                        ; -- End function
	.section	.AMDGPU.csdata,"",@progbits
; Kernel info:
; codeLenInByte = 284
; NumSgprs: 10
; NumVgprs: 12
; ScratchSize: 0
; MemoryBound: 1
; FloatMode: 240
; IeeeMode: 1
; LDSByteSize: 0 bytes/workgroup (compile time only)
; SGPRBlocks: 1
; VGPRBlocks: 1
; NumSGPRsForWavesPerEU: 10
; NumVGPRsForWavesPerEU: 12
; Occupancy: 16
; WaveLimiterHint : 0
; COMPUTE_PGM_RSRC2:SCRATCH_EN: 0
; COMPUTE_PGM_RSRC2:USER_SGPR: 15
; COMPUTE_PGM_RSRC2:TRAP_HANDLER: 0
; COMPUTE_PGM_RSRC2:TGID_X_EN: 1
; COMPUTE_PGM_RSRC2:TGID_Y_EN: 0
; COMPUTE_PGM_RSRC2:TGID_Z_EN: 0
; COMPUTE_PGM_RSRC2:TIDIG_COMP_CNT: 0
	.section	.text._Z25warp_store_guarded_kernelILj1024ELj4ELj32ELN7rocprim17ROCPRIM_304000_NS17warp_store_methodE1E15HIP_vector_typeIfLj2EEEvPT3_S6_i,"axG",@progbits,_Z25warp_store_guarded_kernelILj1024ELj4ELj32ELN7rocprim17ROCPRIM_304000_NS17warp_store_methodE1E15HIP_vector_typeIfLj2EEEvPT3_S6_i,comdat
	.protected	_Z25warp_store_guarded_kernelILj1024ELj4ELj32ELN7rocprim17ROCPRIM_304000_NS17warp_store_methodE1E15HIP_vector_typeIfLj2EEEvPT3_S6_i ; -- Begin function _Z25warp_store_guarded_kernelILj1024ELj4ELj32ELN7rocprim17ROCPRIM_304000_NS17warp_store_methodE1E15HIP_vector_typeIfLj2EEEvPT3_S6_i
	.globl	_Z25warp_store_guarded_kernelILj1024ELj4ELj32ELN7rocprim17ROCPRIM_304000_NS17warp_store_methodE1E15HIP_vector_typeIfLj2EEEvPT3_S6_i
	.p2align	8
	.type	_Z25warp_store_guarded_kernelILj1024ELj4ELj32ELN7rocprim17ROCPRIM_304000_NS17warp_store_methodE1E15HIP_vector_typeIfLj2EEEvPT3_S6_i,@function
_Z25warp_store_guarded_kernelILj1024ELj4ELj32ELN7rocprim17ROCPRIM_304000_NS17warp_store_methodE1E15HIP_vector_typeIfLj2EEEvPT3_S6_i: ; @_Z25warp_store_guarded_kernelILj1024ELj4ELj32ELN7rocprim17ROCPRIM_304000_NS17warp_store_methodE1E15HIP_vector_typeIfLj2EEEvPT3_S6_i
; %bb.0:
	s_load_b128 s[4:7], s[0:1], 0x0
	v_lshlrev_b32_e32 v9, 5, v0
	s_load_b32 s0, s[0:1], 0x10
	v_mbcnt_lo_u32_b32 v8, -1, 0
	s_waitcnt lgkmcnt(0)
	s_clause 0x1
	global_load_b64 v[4:5], v9, s[4:5] offset:24
	global_load_b128 v[0:3], v9, s[4:5] offset:8
	v_and_b32_e32 v6, 0x7c00, v9
	v_lshlrev_b32_e32 v7, 3, v8
	s_delay_alu instid0(VALU_DEP_2) | instskip(NEXT) | instid1(VALU_DEP_1)
	v_add_co_u32 v6, s1, s6, v6
	v_add_co_ci_u32_e64 v10, null, s7, 0, s1
	s_mov_b32 s1, exec_lo
	s_delay_alu instid0(VALU_DEP_2) | instskip(NEXT) | instid1(VALU_DEP_2)
	v_add_co_u32 v6, vcc_lo, v6, v7
	v_add_co_ci_u32_e32 v7, vcc_lo, 0, v10, vcc_lo
	v_cmpx_gt_u32_e64 s0, v8
	s_cbranch_execz .LBB62_2
; %bb.1:
	v_add_co_u32 v9, s2, s4, v9
	s_delay_alu instid0(VALU_DEP_1)
	v_add_co_ci_u32_e64 v10, null, s5, 0, s2
	global_load_b64 v[9:10], v[9:10], off
	s_waitcnt vmcnt(0)
	global_store_b64 v[6:7], v[9:10], off
.LBB62_2:
	s_or_b32 exec_lo, exec_lo, s1
	v_or_b32_e32 v9, 32, v8
	s_mov_b32 s1, exec_lo
	s_delay_alu instid0(VALU_DEP_1)
	v_cmpx_gt_u32_e64 s0, v9
	s_cbranch_execz .LBB62_4
; %bb.3:
	s_waitcnt vmcnt(0)
	global_store_b64 v[6:7], v[0:1], off offset:256
.LBB62_4:
	s_or_b32 exec_lo, exec_lo, s1
	s_waitcnt vmcnt(0)
	v_or_b32_e32 v0, 64, v8
	s_mov_b32 s1, exec_lo
	s_delay_alu instid0(VALU_DEP_1)
	v_cmpx_gt_u32_e64 s0, v0
	s_cbranch_execz .LBB62_6
; %bb.5:
	global_store_b64 v[6:7], v[2:3], off offset:512
.LBB62_6:
	s_or_b32 exec_lo, exec_lo, s1
	v_or_b32_e32 v0, 0x60, v8
	s_delay_alu instid0(VALU_DEP_1)
	v_cmp_gt_u32_e32 vcc_lo, s0, v0
	s_and_saveexec_b32 s0, vcc_lo
	s_cbranch_execz .LBB62_8
; %bb.7:
	global_store_b64 v[6:7], v[4:5], off offset:768
.LBB62_8:
	s_nop 0
	s_sendmsg sendmsg(MSG_DEALLOC_VGPRS)
	s_endpgm
	.section	.rodata,"a",@progbits
	.p2align	6, 0x0
	.amdhsa_kernel _Z25warp_store_guarded_kernelILj1024ELj4ELj32ELN7rocprim17ROCPRIM_304000_NS17warp_store_methodE1E15HIP_vector_typeIfLj2EEEvPT3_S6_i
		.amdhsa_group_segment_fixed_size 0
		.amdhsa_private_segment_fixed_size 0
		.amdhsa_kernarg_size 20
		.amdhsa_user_sgpr_count 15
		.amdhsa_user_sgpr_dispatch_ptr 0
		.amdhsa_user_sgpr_queue_ptr 0
		.amdhsa_user_sgpr_kernarg_segment_ptr 1
		.amdhsa_user_sgpr_dispatch_id 0
		.amdhsa_user_sgpr_private_segment_size 0
		.amdhsa_wavefront_size32 1
		.amdhsa_uses_dynamic_stack 0
		.amdhsa_enable_private_segment 0
		.amdhsa_system_sgpr_workgroup_id_x 1
		.amdhsa_system_sgpr_workgroup_id_y 0
		.amdhsa_system_sgpr_workgroup_id_z 0
		.amdhsa_system_sgpr_workgroup_info 0
		.amdhsa_system_vgpr_workitem_id 0
		.amdhsa_next_free_vgpr 11
		.amdhsa_next_free_sgpr 8
		.amdhsa_reserve_vcc 1
		.amdhsa_float_round_mode_32 0
		.amdhsa_float_round_mode_16_64 0
		.amdhsa_float_denorm_mode_32 3
		.amdhsa_float_denorm_mode_16_64 3
		.amdhsa_dx10_clamp 1
		.amdhsa_ieee_mode 1
		.amdhsa_fp16_overflow 0
		.amdhsa_workgroup_processor_mode 1
		.amdhsa_memory_ordered 1
		.amdhsa_forward_progress 0
		.amdhsa_shared_vgpr_count 0
		.amdhsa_exception_fp_ieee_invalid_op 0
		.amdhsa_exception_fp_denorm_src 0
		.amdhsa_exception_fp_ieee_div_zero 0
		.amdhsa_exception_fp_ieee_overflow 0
		.amdhsa_exception_fp_ieee_underflow 0
		.amdhsa_exception_fp_ieee_inexact 0
		.amdhsa_exception_int_div_zero 0
	.end_amdhsa_kernel
	.section	.text._Z25warp_store_guarded_kernelILj1024ELj4ELj32ELN7rocprim17ROCPRIM_304000_NS17warp_store_methodE1E15HIP_vector_typeIfLj2EEEvPT3_S6_i,"axG",@progbits,_Z25warp_store_guarded_kernelILj1024ELj4ELj32ELN7rocprim17ROCPRIM_304000_NS17warp_store_methodE1E15HIP_vector_typeIfLj2EEEvPT3_S6_i,comdat
.Lfunc_end62:
	.size	_Z25warp_store_guarded_kernelILj1024ELj4ELj32ELN7rocprim17ROCPRIM_304000_NS17warp_store_methodE1E15HIP_vector_typeIfLj2EEEvPT3_S6_i, .Lfunc_end62-_Z25warp_store_guarded_kernelILj1024ELj4ELj32ELN7rocprim17ROCPRIM_304000_NS17warp_store_methodE1E15HIP_vector_typeIfLj2EEEvPT3_S6_i
                                        ; -- End function
	.section	.AMDGPU.csdata,"",@progbits
; Kernel info:
; codeLenInByte = 284
; NumSgprs: 10
; NumVgprs: 11
; ScratchSize: 0
; MemoryBound: 1
; FloatMode: 240
; IeeeMode: 1
; LDSByteSize: 0 bytes/workgroup (compile time only)
; SGPRBlocks: 1
; VGPRBlocks: 1
; NumSGPRsForWavesPerEU: 10
; NumVGPRsForWavesPerEU: 11
; Occupancy: 16
; WaveLimiterHint : 0
; COMPUTE_PGM_RSRC2:SCRATCH_EN: 0
; COMPUTE_PGM_RSRC2:USER_SGPR: 15
; COMPUTE_PGM_RSRC2:TRAP_HANDLER: 0
; COMPUTE_PGM_RSRC2:TGID_X_EN: 1
; COMPUTE_PGM_RSRC2:TGID_Y_EN: 0
; COMPUTE_PGM_RSRC2:TGID_Z_EN: 0
; COMPUTE_PGM_RSRC2:TIDIG_COMP_CNT: 0
	.section	.text._Z25warp_store_guarded_kernelILj1024ELj4ELj32ELN7rocprim17ROCPRIM_304000_NS17warp_store_methodE0E15HIP_vector_typeIfLj2EEEvPT3_S6_i,"axG",@progbits,_Z25warp_store_guarded_kernelILj1024ELj4ELj32ELN7rocprim17ROCPRIM_304000_NS17warp_store_methodE0E15HIP_vector_typeIfLj2EEEvPT3_S6_i,comdat
	.protected	_Z25warp_store_guarded_kernelILj1024ELj4ELj32ELN7rocprim17ROCPRIM_304000_NS17warp_store_methodE0E15HIP_vector_typeIfLj2EEEvPT3_S6_i ; -- Begin function _Z25warp_store_guarded_kernelILj1024ELj4ELj32ELN7rocprim17ROCPRIM_304000_NS17warp_store_methodE0E15HIP_vector_typeIfLj2EEEvPT3_S6_i
	.globl	_Z25warp_store_guarded_kernelILj1024ELj4ELj32ELN7rocprim17ROCPRIM_304000_NS17warp_store_methodE0E15HIP_vector_typeIfLj2EEEvPT3_S6_i
	.p2align	8
	.type	_Z25warp_store_guarded_kernelILj1024ELj4ELj32ELN7rocprim17ROCPRIM_304000_NS17warp_store_methodE0E15HIP_vector_typeIfLj2EEEvPT3_S6_i,@function
_Z25warp_store_guarded_kernelILj1024ELj4ELj32ELN7rocprim17ROCPRIM_304000_NS17warp_store_methodE0E15HIP_vector_typeIfLj2EEEvPT3_S6_i: ; @_Z25warp_store_guarded_kernelILj1024ELj4ELj32ELN7rocprim17ROCPRIM_304000_NS17warp_store_methodE0E15HIP_vector_typeIfLj2EEEvPT3_S6_i
; %bb.0:
	s_load_b128 s[4:7], s[0:1], 0x0
	v_lshlrev_b32_e32 v9, 5, v0
	s_load_b32 s0, s[0:1], 0x10
	v_mbcnt_lo_u32_b32 v6, -1, 0
	s_waitcnt lgkmcnt(0)
	s_clause 0x1
	global_load_b64 v[4:5], v9, s[4:5] offset:24
	global_load_b128 v[0:3], v9, s[4:5] offset:8
	v_and_b32_e32 v7, 0x7c00, v9
	v_lshlrev_b32_e32 v10, 5, v6
	v_lshlrev_b32_e32 v8, 2, v6
	s_delay_alu instid0(VALU_DEP_3) | instskip(NEXT) | instid1(VALU_DEP_1)
	v_add_co_u32 v7, s1, s6, v7
	v_add_co_ci_u32_e64 v11, null, s7, 0, s1
	s_mov_b32 s1, exec_lo
	s_delay_alu instid0(VALU_DEP_2) | instskip(NEXT) | instid1(VALU_DEP_2)
	v_add_co_u32 v6, vcc_lo, v7, v10
	v_add_co_ci_u32_e32 v7, vcc_lo, 0, v11, vcc_lo
	v_cmpx_gt_u32_e64 s0, v8
	s_cbranch_execz .LBB63_2
; %bb.1:
	v_add_co_u32 v9, s2, s4, v9
	s_delay_alu instid0(VALU_DEP_1)
	v_add_co_ci_u32_e64 v10, null, s5, 0, s2
	global_load_b64 v[9:10], v[9:10], off
	s_waitcnt vmcnt(0)
	global_store_b64 v[6:7], v[9:10], off
.LBB63_2:
	s_or_b32 exec_lo, exec_lo, s1
	v_or_b32_e32 v9, 1, v8
	s_mov_b32 s1, exec_lo
	s_delay_alu instid0(VALU_DEP_1)
	v_cmpx_gt_u32_e64 s0, v9
	s_cbranch_execz .LBB63_4
; %bb.3:
	s_waitcnt vmcnt(0)
	global_store_b64 v[6:7], v[0:1], off offset:8
.LBB63_4:
	s_or_b32 exec_lo, exec_lo, s1
	s_waitcnt vmcnt(0)
	v_or_b32_e32 v0, 2, v8
	s_mov_b32 s1, exec_lo
	s_delay_alu instid0(VALU_DEP_1)
	v_cmpx_gt_u32_e64 s0, v0
	s_cbranch_execz .LBB63_6
; %bb.5:
	global_store_b64 v[6:7], v[2:3], off offset:16
.LBB63_6:
	s_or_b32 exec_lo, exec_lo, s1
	v_or_b32_e32 v0, 3, v8
	s_delay_alu instid0(VALU_DEP_1)
	v_cmp_gt_u32_e32 vcc_lo, s0, v0
	s_and_saveexec_b32 s0, vcc_lo
	s_cbranch_execz .LBB63_8
; %bb.7:
	global_store_b64 v[6:7], v[4:5], off offset:24
.LBB63_8:
	s_nop 0
	s_sendmsg sendmsg(MSG_DEALLOC_VGPRS)
	s_endpgm
	.section	.rodata,"a",@progbits
	.p2align	6, 0x0
	.amdhsa_kernel _Z25warp_store_guarded_kernelILj1024ELj4ELj32ELN7rocprim17ROCPRIM_304000_NS17warp_store_methodE0E15HIP_vector_typeIfLj2EEEvPT3_S6_i
		.amdhsa_group_segment_fixed_size 0
		.amdhsa_private_segment_fixed_size 0
		.amdhsa_kernarg_size 20
		.amdhsa_user_sgpr_count 15
		.amdhsa_user_sgpr_dispatch_ptr 0
		.amdhsa_user_sgpr_queue_ptr 0
		.amdhsa_user_sgpr_kernarg_segment_ptr 1
		.amdhsa_user_sgpr_dispatch_id 0
		.amdhsa_user_sgpr_private_segment_size 0
		.amdhsa_wavefront_size32 1
		.amdhsa_uses_dynamic_stack 0
		.amdhsa_enable_private_segment 0
		.amdhsa_system_sgpr_workgroup_id_x 1
		.amdhsa_system_sgpr_workgroup_id_y 0
		.amdhsa_system_sgpr_workgroup_id_z 0
		.amdhsa_system_sgpr_workgroup_info 0
		.amdhsa_system_vgpr_workitem_id 0
		.amdhsa_next_free_vgpr 12
		.amdhsa_next_free_sgpr 8
		.amdhsa_reserve_vcc 1
		.amdhsa_float_round_mode_32 0
		.amdhsa_float_round_mode_16_64 0
		.amdhsa_float_denorm_mode_32 3
		.amdhsa_float_denorm_mode_16_64 3
		.amdhsa_dx10_clamp 1
		.amdhsa_ieee_mode 1
		.amdhsa_fp16_overflow 0
		.amdhsa_workgroup_processor_mode 1
		.amdhsa_memory_ordered 1
		.amdhsa_forward_progress 0
		.amdhsa_shared_vgpr_count 0
		.amdhsa_exception_fp_ieee_invalid_op 0
		.amdhsa_exception_fp_denorm_src 0
		.amdhsa_exception_fp_ieee_div_zero 0
		.amdhsa_exception_fp_ieee_overflow 0
		.amdhsa_exception_fp_ieee_underflow 0
		.amdhsa_exception_fp_ieee_inexact 0
		.amdhsa_exception_int_div_zero 0
	.end_amdhsa_kernel
	.section	.text._Z25warp_store_guarded_kernelILj1024ELj4ELj32ELN7rocprim17ROCPRIM_304000_NS17warp_store_methodE0E15HIP_vector_typeIfLj2EEEvPT3_S6_i,"axG",@progbits,_Z25warp_store_guarded_kernelILj1024ELj4ELj32ELN7rocprim17ROCPRIM_304000_NS17warp_store_methodE0E15HIP_vector_typeIfLj2EEEvPT3_S6_i,comdat
.Lfunc_end63:
	.size	_Z25warp_store_guarded_kernelILj1024ELj4ELj32ELN7rocprim17ROCPRIM_304000_NS17warp_store_methodE0E15HIP_vector_typeIfLj2EEEvPT3_S6_i, .Lfunc_end63-_Z25warp_store_guarded_kernelILj1024ELj4ELj32ELN7rocprim17ROCPRIM_304000_NS17warp_store_methodE0E15HIP_vector_typeIfLj2EEEvPT3_S6_i
                                        ; -- End function
	.section	.AMDGPU.csdata,"",@progbits
; Kernel info:
; codeLenInByte = 284
; NumSgprs: 10
; NumVgprs: 12
; ScratchSize: 0
; MemoryBound: 1
; FloatMode: 240
; IeeeMode: 1
; LDSByteSize: 0 bytes/workgroup (compile time only)
; SGPRBlocks: 1
; VGPRBlocks: 1
; NumSGPRsForWavesPerEU: 10
; NumVGPRsForWavesPerEU: 12
; Occupancy: 16
; WaveLimiterHint : 0
; COMPUTE_PGM_RSRC2:SCRATCH_EN: 0
; COMPUTE_PGM_RSRC2:USER_SGPR: 15
; COMPUTE_PGM_RSRC2:TRAP_HANDLER: 0
; COMPUTE_PGM_RSRC2:TGID_X_EN: 1
; COMPUTE_PGM_RSRC2:TGID_Y_EN: 0
; COMPUTE_PGM_RSRC2:TGID_Z_EN: 0
; COMPUTE_PGM_RSRC2:TIDIG_COMP_CNT: 0
	.section	.text._Z25warp_store_guarded_kernelILj1024ELj4ELj64ELN7rocprim17ROCPRIM_304000_NS17warp_store_methodE3EiEvPT3_S4_i,"axG",@progbits,_Z25warp_store_guarded_kernelILj1024ELj4ELj64ELN7rocprim17ROCPRIM_304000_NS17warp_store_methodE3EiEvPT3_S4_i,comdat
	.protected	_Z25warp_store_guarded_kernelILj1024ELj4ELj64ELN7rocprim17ROCPRIM_304000_NS17warp_store_methodE3EiEvPT3_S4_i ; -- Begin function _Z25warp_store_guarded_kernelILj1024ELj4ELj64ELN7rocprim17ROCPRIM_304000_NS17warp_store_methodE3EiEvPT3_S4_i
	.globl	_Z25warp_store_guarded_kernelILj1024ELj4ELj64ELN7rocprim17ROCPRIM_304000_NS17warp_store_methodE3EiEvPT3_S4_i
	.p2align	8
	.type	_Z25warp_store_guarded_kernelILj1024ELj4ELj64ELN7rocprim17ROCPRIM_304000_NS17warp_store_methodE3EiEvPT3_S4_i,@function
_Z25warp_store_guarded_kernelILj1024ELj4ELj64ELN7rocprim17ROCPRIM_304000_NS17warp_store_methodE3EiEvPT3_S4_i: ; @_Z25warp_store_guarded_kernelILj1024ELj4ELj64ELN7rocprim17ROCPRIM_304000_NS17warp_store_methodE3EiEvPT3_S4_i
; %bb.0:
	s_endpgm
	.section	.rodata,"a",@progbits
	.p2align	6, 0x0
	.amdhsa_kernel _Z25warp_store_guarded_kernelILj1024ELj4ELj64ELN7rocprim17ROCPRIM_304000_NS17warp_store_methodE3EiEvPT3_S4_i
		.amdhsa_group_segment_fixed_size 0
		.amdhsa_private_segment_fixed_size 0
		.amdhsa_kernarg_size 20
		.amdhsa_user_sgpr_count 15
		.amdhsa_user_sgpr_dispatch_ptr 0
		.amdhsa_user_sgpr_queue_ptr 0
		.amdhsa_user_sgpr_kernarg_segment_ptr 1
		.amdhsa_user_sgpr_dispatch_id 0
		.amdhsa_user_sgpr_private_segment_size 0
		.amdhsa_wavefront_size32 1
		.amdhsa_uses_dynamic_stack 0
		.amdhsa_enable_private_segment 0
		.amdhsa_system_sgpr_workgroup_id_x 1
		.amdhsa_system_sgpr_workgroup_id_y 0
		.amdhsa_system_sgpr_workgroup_id_z 0
		.amdhsa_system_sgpr_workgroup_info 0
		.amdhsa_system_vgpr_workitem_id 0
		.amdhsa_next_free_vgpr 1
		.amdhsa_next_free_sgpr 1
		.amdhsa_reserve_vcc 0
		.amdhsa_float_round_mode_32 0
		.amdhsa_float_round_mode_16_64 0
		.amdhsa_float_denorm_mode_32 3
		.amdhsa_float_denorm_mode_16_64 3
		.amdhsa_dx10_clamp 1
		.amdhsa_ieee_mode 1
		.amdhsa_fp16_overflow 0
		.amdhsa_workgroup_processor_mode 1
		.amdhsa_memory_ordered 1
		.amdhsa_forward_progress 0
		.amdhsa_shared_vgpr_count 0
		.amdhsa_exception_fp_ieee_invalid_op 0
		.amdhsa_exception_fp_denorm_src 0
		.amdhsa_exception_fp_ieee_div_zero 0
		.amdhsa_exception_fp_ieee_overflow 0
		.amdhsa_exception_fp_ieee_underflow 0
		.amdhsa_exception_fp_ieee_inexact 0
		.amdhsa_exception_int_div_zero 0
	.end_amdhsa_kernel
	.section	.text._Z25warp_store_guarded_kernelILj1024ELj4ELj64ELN7rocprim17ROCPRIM_304000_NS17warp_store_methodE3EiEvPT3_S4_i,"axG",@progbits,_Z25warp_store_guarded_kernelILj1024ELj4ELj64ELN7rocprim17ROCPRIM_304000_NS17warp_store_methodE3EiEvPT3_S4_i,comdat
.Lfunc_end64:
	.size	_Z25warp_store_guarded_kernelILj1024ELj4ELj64ELN7rocprim17ROCPRIM_304000_NS17warp_store_methodE3EiEvPT3_S4_i, .Lfunc_end64-_Z25warp_store_guarded_kernelILj1024ELj4ELj64ELN7rocprim17ROCPRIM_304000_NS17warp_store_methodE3EiEvPT3_S4_i
                                        ; -- End function
	.section	.AMDGPU.csdata,"",@progbits
; Kernel info:
; codeLenInByte = 4
; NumSgprs: 0
; NumVgprs: 0
; ScratchSize: 0
; MemoryBound: 0
; FloatMode: 240
; IeeeMode: 1
; LDSByteSize: 0 bytes/workgroup (compile time only)
; SGPRBlocks: 0
; VGPRBlocks: 0
; NumSGPRsForWavesPerEU: 1
; NumVGPRsForWavesPerEU: 1
; Occupancy: 16
; WaveLimiterHint : 0
; COMPUTE_PGM_RSRC2:SCRATCH_EN: 0
; COMPUTE_PGM_RSRC2:USER_SGPR: 15
; COMPUTE_PGM_RSRC2:TRAP_HANDLER: 0
; COMPUTE_PGM_RSRC2:TGID_X_EN: 1
; COMPUTE_PGM_RSRC2:TGID_Y_EN: 0
; COMPUTE_PGM_RSRC2:TGID_Z_EN: 0
; COMPUTE_PGM_RSRC2:TIDIG_COMP_CNT: 0
	.section	.text._Z25warp_store_guarded_kernelILj1024ELj4ELj64ELN7rocprim17ROCPRIM_304000_NS17warp_store_methodE2EiEvPT3_S4_i,"axG",@progbits,_Z25warp_store_guarded_kernelILj1024ELj4ELj64ELN7rocprim17ROCPRIM_304000_NS17warp_store_methodE2EiEvPT3_S4_i,comdat
	.protected	_Z25warp_store_guarded_kernelILj1024ELj4ELj64ELN7rocprim17ROCPRIM_304000_NS17warp_store_methodE2EiEvPT3_S4_i ; -- Begin function _Z25warp_store_guarded_kernelILj1024ELj4ELj64ELN7rocprim17ROCPRIM_304000_NS17warp_store_methodE2EiEvPT3_S4_i
	.globl	_Z25warp_store_guarded_kernelILj1024ELj4ELj64ELN7rocprim17ROCPRIM_304000_NS17warp_store_methodE2EiEvPT3_S4_i
	.p2align	8
	.type	_Z25warp_store_guarded_kernelILj1024ELj4ELj64ELN7rocprim17ROCPRIM_304000_NS17warp_store_methodE2EiEvPT3_S4_i,@function
_Z25warp_store_guarded_kernelILj1024ELj4ELj64ELN7rocprim17ROCPRIM_304000_NS17warp_store_methodE2EiEvPT3_S4_i: ; @_Z25warp_store_guarded_kernelILj1024ELj4ELj64ELN7rocprim17ROCPRIM_304000_NS17warp_store_methodE2EiEvPT3_S4_i
; %bb.0:
	s_endpgm
	.section	.rodata,"a",@progbits
	.p2align	6, 0x0
	.amdhsa_kernel _Z25warp_store_guarded_kernelILj1024ELj4ELj64ELN7rocprim17ROCPRIM_304000_NS17warp_store_methodE2EiEvPT3_S4_i
		.amdhsa_group_segment_fixed_size 0
		.amdhsa_private_segment_fixed_size 0
		.amdhsa_kernarg_size 20
		.amdhsa_user_sgpr_count 15
		.amdhsa_user_sgpr_dispatch_ptr 0
		.amdhsa_user_sgpr_queue_ptr 0
		.amdhsa_user_sgpr_kernarg_segment_ptr 1
		.amdhsa_user_sgpr_dispatch_id 0
		.amdhsa_user_sgpr_private_segment_size 0
		.amdhsa_wavefront_size32 1
		.amdhsa_uses_dynamic_stack 0
		.amdhsa_enable_private_segment 0
		.amdhsa_system_sgpr_workgroup_id_x 1
		.amdhsa_system_sgpr_workgroup_id_y 0
		.amdhsa_system_sgpr_workgroup_id_z 0
		.amdhsa_system_sgpr_workgroup_info 0
		.amdhsa_system_vgpr_workitem_id 0
		.amdhsa_next_free_vgpr 1
		.amdhsa_next_free_sgpr 1
		.amdhsa_reserve_vcc 0
		.amdhsa_float_round_mode_32 0
		.amdhsa_float_round_mode_16_64 0
		.amdhsa_float_denorm_mode_32 3
		.amdhsa_float_denorm_mode_16_64 3
		.amdhsa_dx10_clamp 1
		.amdhsa_ieee_mode 1
		.amdhsa_fp16_overflow 0
		.amdhsa_workgroup_processor_mode 1
		.amdhsa_memory_ordered 1
		.amdhsa_forward_progress 0
		.amdhsa_shared_vgpr_count 0
		.amdhsa_exception_fp_ieee_invalid_op 0
		.amdhsa_exception_fp_denorm_src 0
		.amdhsa_exception_fp_ieee_div_zero 0
		.amdhsa_exception_fp_ieee_overflow 0
		.amdhsa_exception_fp_ieee_underflow 0
		.amdhsa_exception_fp_ieee_inexact 0
		.amdhsa_exception_int_div_zero 0
	.end_amdhsa_kernel
	.section	.text._Z25warp_store_guarded_kernelILj1024ELj4ELj64ELN7rocprim17ROCPRIM_304000_NS17warp_store_methodE2EiEvPT3_S4_i,"axG",@progbits,_Z25warp_store_guarded_kernelILj1024ELj4ELj64ELN7rocprim17ROCPRIM_304000_NS17warp_store_methodE2EiEvPT3_S4_i,comdat
.Lfunc_end65:
	.size	_Z25warp_store_guarded_kernelILj1024ELj4ELj64ELN7rocprim17ROCPRIM_304000_NS17warp_store_methodE2EiEvPT3_S4_i, .Lfunc_end65-_Z25warp_store_guarded_kernelILj1024ELj4ELj64ELN7rocprim17ROCPRIM_304000_NS17warp_store_methodE2EiEvPT3_S4_i
                                        ; -- End function
	.section	.AMDGPU.csdata,"",@progbits
; Kernel info:
; codeLenInByte = 4
; NumSgprs: 0
; NumVgprs: 0
; ScratchSize: 0
; MemoryBound: 0
; FloatMode: 240
; IeeeMode: 1
; LDSByteSize: 0 bytes/workgroup (compile time only)
; SGPRBlocks: 0
; VGPRBlocks: 0
; NumSGPRsForWavesPerEU: 1
; NumVGPRsForWavesPerEU: 1
; Occupancy: 16
; WaveLimiterHint : 0
; COMPUTE_PGM_RSRC2:SCRATCH_EN: 0
; COMPUTE_PGM_RSRC2:USER_SGPR: 15
; COMPUTE_PGM_RSRC2:TRAP_HANDLER: 0
; COMPUTE_PGM_RSRC2:TGID_X_EN: 1
; COMPUTE_PGM_RSRC2:TGID_Y_EN: 0
; COMPUTE_PGM_RSRC2:TGID_Z_EN: 0
; COMPUTE_PGM_RSRC2:TIDIG_COMP_CNT: 0
	.section	.text._Z25warp_store_guarded_kernelILj1024ELj4ELj64ELN7rocprim17ROCPRIM_304000_NS17warp_store_methodE1EiEvPT3_S4_i,"axG",@progbits,_Z25warp_store_guarded_kernelILj1024ELj4ELj64ELN7rocprim17ROCPRIM_304000_NS17warp_store_methodE1EiEvPT3_S4_i,comdat
	.protected	_Z25warp_store_guarded_kernelILj1024ELj4ELj64ELN7rocprim17ROCPRIM_304000_NS17warp_store_methodE1EiEvPT3_S4_i ; -- Begin function _Z25warp_store_guarded_kernelILj1024ELj4ELj64ELN7rocprim17ROCPRIM_304000_NS17warp_store_methodE1EiEvPT3_S4_i
	.globl	_Z25warp_store_guarded_kernelILj1024ELj4ELj64ELN7rocprim17ROCPRIM_304000_NS17warp_store_methodE1EiEvPT3_S4_i
	.p2align	8
	.type	_Z25warp_store_guarded_kernelILj1024ELj4ELj64ELN7rocprim17ROCPRIM_304000_NS17warp_store_methodE1EiEvPT3_S4_i,@function
_Z25warp_store_guarded_kernelILj1024ELj4ELj64ELN7rocprim17ROCPRIM_304000_NS17warp_store_methodE1EiEvPT3_S4_i: ; @_Z25warp_store_guarded_kernelILj1024ELj4ELj64ELN7rocprim17ROCPRIM_304000_NS17warp_store_methodE1EiEvPT3_S4_i
; %bb.0:
	s_endpgm
	.section	.rodata,"a",@progbits
	.p2align	6, 0x0
	.amdhsa_kernel _Z25warp_store_guarded_kernelILj1024ELj4ELj64ELN7rocprim17ROCPRIM_304000_NS17warp_store_methodE1EiEvPT3_S4_i
		.amdhsa_group_segment_fixed_size 0
		.amdhsa_private_segment_fixed_size 0
		.amdhsa_kernarg_size 20
		.amdhsa_user_sgpr_count 15
		.amdhsa_user_sgpr_dispatch_ptr 0
		.amdhsa_user_sgpr_queue_ptr 0
		.amdhsa_user_sgpr_kernarg_segment_ptr 1
		.amdhsa_user_sgpr_dispatch_id 0
		.amdhsa_user_sgpr_private_segment_size 0
		.amdhsa_wavefront_size32 1
		.amdhsa_uses_dynamic_stack 0
		.amdhsa_enable_private_segment 0
		.amdhsa_system_sgpr_workgroup_id_x 1
		.amdhsa_system_sgpr_workgroup_id_y 0
		.amdhsa_system_sgpr_workgroup_id_z 0
		.amdhsa_system_sgpr_workgroup_info 0
		.amdhsa_system_vgpr_workitem_id 0
		.amdhsa_next_free_vgpr 1
		.amdhsa_next_free_sgpr 1
		.amdhsa_reserve_vcc 0
		.amdhsa_float_round_mode_32 0
		.amdhsa_float_round_mode_16_64 0
		.amdhsa_float_denorm_mode_32 3
		.amdhsa_float_denorm_mode_16_64 3
		.amdhsa_dx10_clamp 1
		.amdhsa_ieee_mode 1
		.amdhsa_fp16_overflow 0
		.amdhsa_workgroup_processor_mode 1
		.amdhsa_memory_ordered 1
		.amdhsa_forward_progress 0
		.amdhsa_shared_vgpr_count 0
		.amdhsa_exception_fp_ieee_invalid_op 0
		.amdhsa_exception_fp_denorm_src 0
		.amdhsa_exception_fp_ieee_div_zero 0
		.amdhsa_exception_fp_ieee_overflow 0
		.amdhsa_exception_fp_ieee_underflow 0
		.amdhsa_exception_fp_ieee_inexact 0
		.amdhsa_exception_int_div_zero 0
	.end_amdhsa_kernel
	.section	.text._Z25warp_store_guarded_kernelILj1024ELj4ELj64ELN7rocprim17ROCPRIM_304000_NS17warp_store_methodE1EiEvPT3_S4_i,"axG",@progbits,_Z25warp_store_guarded_kernelILj1024ELj4ELj64ELN7rocprim17ROCPRIM_304000_NS17warp_store_methodE1EiEvPT3_S4_i,comdat
.Lfunc_end66:
	.size	_Z25warp_store_guarded_kernelILj1024ELj4ELj64ELN7rocprim17ROCPRIM_304000_NS17warp_store_methodE1EiEvPT3_S4_i, .Lfunc_end66-_Z25warp_store_guarded_kernelILj1024ELj4ELj64ELN7rocprim17ROCPRIM_304000_NS17warp_store_methodE1EiEvPT3_S4_i
                                        ; -- End function
	.section	.AMDGPU.csdata,"",@progbits
; Kernel info:
; codeLenInByte = 4
; NumSgprs: 0
; NumVgprs: 0
; ScratchSize: 0
; MemoryBound: 0
; FloatMode: 240
; IeeeMode: 1
; LDSByteSize: 0 bytes/workgroup (compile time only)
; SGPRBlocks: 0
; VGPRBlocks: 0
; NumSGPRsForWavesPerEU: 1
; NumVGPRsForWavesPerEU: 1
; Occupancy: 16
; WaveLimiterHint : 0
; COMPUTE_PGM_RSRC2:SCRATCH_EN: 0
; COMPUTE_PGM_RSRC2:USER_SGPR: 15
; COMPUTE_PGM_RSRC2:TRAP_HANDLER: 0
; COMPUTE_PGM_RSRC2:TGID_X_EN: 1
; COMPUTE_PGM_RSRC2:TGID_Y_EN: 0
; COMPUTE_PGM_RSRC2:TGID_Z_EN: 0
; COMPUTE_PGM_RSRC2:TIDIG_COMP_CNT: 0
	.section	.text._Z25warp_store_guarded_kernelILj1024ELj4ELj64ELN7rocprim17ROCPRIM_304000_NS17warp_store_methodE0EiEvPT3_S4_i,"axG",@progbits,_Z25warp_store_guarded_kernelILj1024ELj4ELj64ELN7rocprim17ROCPRIM_304000_NS17warp_store_methodE0EiEvPT3_S4_i,comdat
	.protected	_Z25warp_store_guarded_kernelILj1024ELj4ELj64ELN7rocprim17ROCPRIM_304000_NS17warp_store_methodE0EiEvPT3_S4_i ; -- Begin function _Z25warp_store_guarded_kernelILj1024ELj4ELj64ELN7rocprim17ROCPRIM_304000_NS17warp_store_methodE0EiEvPT3_S4_i
	.globl	_Z25warp_store_guarded_kernelILj1024ELj4ELj64ELN7rocprim17ROCPRIM_304000_NS17warp_store_methodE0EiEvPT3_S4_i
	.p2align	8
	.type	_Z25warp_store_guarded_kernelILj1024ELj4ELj64ELN7rocprim17ROCPRIM_304000_NS17warp_store_methodE0EiEvPT3_S4_i,@function
_Z25warp_store_guarded_kernelILj1024ELj4ELj64ELN7rocprim17ROCPRIM_304000_NS17warp_store_methodE0EiEvPT3_S4_i: ; @_Z25warp_store_guarded_kernelILj1024ELj4ELj64ELN7rocprim17ROCPRIM_304000_NS17warp_store_methodE0EiEvPT3_S4_i
; %bb.0:
	s_endpgm
	.section	.rodata,"a",@progbits
	.p2align	6, 0x0
	.amdhsa_kernel _Z25warp_store_guarded_kernelILj1024ELj4ELj64ELN7rocprim17ROCPRIM_304000_NS17warp_store_methodE0EiEvPT3_S4_i
		.amdhsa_group_segment_fixed_size 0
		.amdhsa_private_segment_fixed_size 0
		.amdhsa_kernarg_size 20
		.amdhsa_user_sgpr_count 15
		.amdhsa_user_sgpr_dispatch_ptr 0
		.amdhsa_user_sgpr_queue_ptr 0
		.amdhsa_user_sgpr_kernarg_segment_ptr 1
		.amdhsa_user_sgpr_dispatch_id 0
		.amdhsa_user_sgpr_private_segment_size 0
		.amdhsa_wavefront_size32 1
		.amdhsa_uses_dynamic_stack 0
		.amdhsa_enable_private_segment 0
		.amdhsa_system_sgpr_workgroup_id_x 1
		.amdhsa_system_sgpr_workgroup_id_y 0
		.amdhsa_system_sgpr_workgroup_id_z 0
		.amdhsa_system_sgpr_workgroup_info 0
		.amdhsa_system_vgpr_workitem_id 0
		.amdhsa_next_free_vgpr 1
		.amdhsa_next_free_sgpr 1
		.amdhsa_reserve_vcc 0
		.amdhsa_float_round_mode_32 0
		.amdhsa_float_round_mode_16_64 0
		.amdhsa_float_denorm_mode_32 3
		.amdhsa_float_denorm_mode_16_64 3
		.amdhsa_dx10_clamp 1
		.amdhsa_ieee_mode 1
		.amdhsa_fp16_overflow 0
		.amdhsa_workgroup_processor_mode 1
		.amdhsa_memory_ordered 1
		.amdhsa_forward_progress 0
		.amdhsa_shared_vgpr_count 0
		.amdhsa_exception_fp_ieee_invalid_op 0
		.amdhsa_exception_fp_denorm_src 0
		.amdhsa_exception_fp_ieee_div_zero 0
		.amdhsa_exception_fp_ieee_overflow 0
		.amdhsa_exception_fp_ieee_underflow 0
		.amdhsa_exception_fp_ieee_inexact 0
		.amdhsa_exception_int_div_zero 0
	.end_amdhsa_kernel
	.section	.text._Z25warp_store_guarded_kernelILj1024ELj4ELj64ELN7rocprim17ROCPRIM_304000_NS17warp_store_methodE0EiEvPT3_S4_i,"axG",@progbits,_Z25warp_store_guarded_kernelILj1024ELj4ELj64ELN7rocprim17ROCPRIM_304000_NS17warp_store_methodE0EiEvPT3_S4_i,comdat
.Lfunc_end67:
	.size	_Z25warp_store_guarded_kernelILj1024ELj4ELj64ELN7rocprim17ROCPRIM_304000_NS17warp_store_methodE0EiEvPT3_S4_i, .Lfunc_end67-_Z25warp_store_guarded_kernelILj1024ELj4ELj64ELN7rocprim17ROCPRIM_304000_NS17warp_store_methodE0EiEvPT3_S4_i
                                        ; -- End function
	.section	.AMDGPU.csdata,"",@progbits
; Kernel info:
; codeLenInByte = 4
; NumSgprs: 0
; NumVgprs: 0
; ScratchSize: 0
; MemoryBound: 0
; FloatMode: 240
; IeeeMode: 1
; LDSByteSize: 0 bytes/workgroup (compile time only)
; SGPRBlocks: 0
; VGPRBlocks: 0
; NumSGPRsForWavesPerEU: 1
; NumVGPRsForWavesPerEU: 1
; Occupancy: 16
; WaveLimiterHint : 0
; COMPUTE_PGM_RSRC2:SCRATCH_EN: 0
; COMPUTE_PGM_RSRC2:USER_SGPR: 15
; COMPUTE_PGM_RSRC2:TRAP_HANDLER: 0
; COMPUTE_PGM_RSRC2:TGID_X_EN: 1
; COMPUTE_PGM_RSRC2:TGID_Y_EN: 0
; COMPUTE_PGM_RSRC2:TGID_Z_EN: 0
; COMPUTE_PGM_RSRC2:TIDIG_COMP_CNT: 0
	.section	.text._Z25warp_store_guarded_kernelILj1024ELj4ELj32ELN7rocprim17ROCPRIM_304000_NS17warp_store_methodE3EiEvPT3_S4_i,"axG",@progbits,_Z25warp_store_guarded_kernelILj1024ELj4ELj32ELN7rocprim17ROCPRIM_304000_NS17warp_store_methodE3EiEvPT3_S4_i,comdat
	.protected	_Z25warp_store_guarded_kernelILj1024ELj4ELj32ELN7rocprim17ROCPRIM_304000_NS17warp_store_methodE3EiEvPT3_S4_i ; -- Begin function _Z25warp_store_guarded_kernelILj1024ELj4ELj32ELN7rocprim17ROCPRIM_304000_NS17warp_store_methodE3EiEvPT3_S4_i
	.globl	_Z25warp_store_guarded_kernelILj1024ELj4ELj32ELN7rocprim17ROCPRIM_304000_NS17warp_store_methodE3EiEvPT3_S4_i
	.p2align	8
	.type	_Z25warp_store_guarded_kernelILj1024ELj4ELj32ELN7rocprim17ROCPRIM_304000_NS17warp_store_methodE3EiEvPT3_S4_i,@function
_Z25warp_store_guarded_kernelILj1024ELj4ELj32ELN7rocprim17ROCPRIM_304000_NS17warp_store_methodE3EiEvPT3_S4_i: ; @_Z25warp_store_guarded_kernelILj1024ELj4ELj32ELN7rocprim17ROCPRIM_304000_NS17warp_store_methodE3EiEvPT3_S4_i
; %bb.0:
	s_load_b128 s[4:7], s[0:1], 0x0
	v_lshlrev_b32_e32 v5, 4, v0
	v_mbcnt_lo_u32_b32 v4, -1, 0
	s_load_b32 s0, s[0:1], 0x10
	s_delay_alu instid0(VALU_DEP_2) | instskip(NEXT) | instid1(VALU_DEP_2)
	v_and_b32_e32 v7, 0x3e00, v5
	v_lshlrev_b32_e32 v8, 2, v4
	s_delay_alu instid0(VALU_DEP_1)
	v_or_b32_e32 v6, v7, v8
	s_waitcnt lgkmcnt(0)
	global_load_b128 v[0:3], v5, s[4:5]
	v_lshl_or_b32 v5, v4, 4, v7
	s_waitcnt vmcnt(0)
	ds_store_b128 v5, v[0:3]
	; wave barrier
	ds_load_2addr_b32 v[2:3], v6 offset0:32 offset1:64
	ds_load_b32 v5, v6 offset:384
	v_add_co_u32 v0, s1, s6, v7
	s_delay_alu instid0(VALU_DEP_1) | instskip(SKIP_1) | instid1(VALU_DEP_2)
	v_add_co_ci_u32_e64 v1, null, s7, 0, s1
	s_mov_b32 s1, exec_lo
	v_add_co_u32 v0, vcc_lo, v0, v8
	s_delay_alu instid0(VALU_DEP_2)
	v_add_co_ci_u32_e32 v1, vcc_lo, 0, v1, vcc_lo
	v_cmpx_gt_u32_e64 s0, v4
	s_cbranch_execz .LBB68_2
; %bb.1:
	ds_load_b32 v6, v6
	s_waitcnt lgkmcnt(0)
	global_store_b32 v[0:1], v6, off
.LBB68_2:
	s_or_b32 exec_lo, exec_lo, s1
	v_or_b32_e32 v6, 32, v4
	s_mov_b32 s1, exec_lo
	s_delay_alu instid0(VALU_DEP_1)
	v_cmpx_gt_u32_e64 s0, v6
	s_cbranch_execz .LBB68_4
; %bb.3:
	s_waitcnt lgkmcnt(1)
	global_store_b32 v[0:1], v2, off offset:128
.LBB68_4:
	s_or_b32 exec_lo, exec_lo, s1
	s_waitcnt lgkmcnt(1)
	v_or_b32_e32 v2, 64, v4
	s_mov_b32 s1, exec_lo
	s_delay_alu instid0(VALU_DEP_1)
	v_cmpx_gt_u32_e64 s0, v2
	s_cbranch_execz .LBB68_6
; %bb.5:
	global_store_b32 v[0:1], v3, off offset:256
.LBB68_6:
	s_or_b32 exec_lo, exec_lo, s1
	v_or_b32_e32 v2, 0x60, v4
	s_delay_alu instid0(VALU_DEP_1)
	v_cmp_gt_u32_e32 vcc_lo, s0, v2
	s_and_saveexec_b32 s0, vcc_lo
	s_cbranch_execz .LBB68_8
; %bb.7:
	s_waitcnt lgkmcnt(0)
	global_store_b32 v[0:1], v5, off offset:384
.LBB68_8:
	s_nop 0
	s_sendmsg sendmsg(MSG_DEALLOC_VGPRS)
	s_endpgm
	.section	.rodata,"a",@progbits
	.p2align	6, 0x0
	.amdhsa_kernel _Z25warp_store_guarded_kernelILj1024ELj4ELj32ELN7rocprim17ROCPRIM_304000_NS17warp_store_methodE3EiEvPT3_S4_i
		.amdhsa_group_segment_fixed_size 16384
		.amdhsa_private_segment_fixed_size 0
		.amdhsa_kernarg_size 20
		.amdhsa_user_sgpr_count 15
		.amdhsa_user_sgpr_dispatch_ptr 0
		.amdhsa_user_sgpr_queue_ptr 0
		.amdhsa_user_sgpr_kernarg_segment_ptr 1
		.amdhsa_user_sgpr_dispatch_id 0
		.amdhsa_user_sgpr_private_segment_size 0
		.amdhsa_wavefront_size32 1
		.amdhsa_uses_dynamic_stack 0
		.amdhsa_enable_private_segment 0
		.amdhsa_system_sgpr_workgroup_id_x 1
		.amdhsa_system_sgpr_workgroup_id_y 0
		.amdhsa_system_sgpr_workgroup_id_z 0
		.amdhsa_system_sgpr_workgroup_info 0
		.amdhsa_system_vgpr_workitem_id 0
		.amdhsa_next_free_vgpr 9
		.amdhsa_next_free_sgpr 8
		.amdhsa_reserve_vcc 1
		.amdhsa_float_round_mode_32 0
		.amdhsa_float_round_mode_16_64 0
		.amdhsa_float_denorm_mode_32 3
		.amdhsa_float_denorm_mode_16_64 3
		.amdhsa_dx10_clamp 1
		.amdhsa_ieee_mode 1
		.amdhsa_fp16_overflow 0
		.amdhsa_workgroup_processor_mode 1
		.amdhsa_memory_ordered 1
		.amdhsa_forward_progress 0
		.amdhsa_shared_vgpr_count 0
		.amdhsa_exception_fp_ieee_invalid_op 0
		.amdhsa_exception_fp_denorm_src 0
		.amdhsa_exception_fp_ieee_div_zero 0
		.amdhsa_exception_fp_ieee_overflow 0
		.amdhsa_exception_fp_ieee_underflow 0
		.amdhsa_exception_fp_ieee_inexact 0
		.amdhsa_exception_int_div_zero 0
	.end_amdhsa_kernel
	.section	.text._Z25warp_store_guarded_kernelILj1024ELj4ELj32ELN7rocprim17ROCPRIM_304000_NS17warp_store_methodE3EiEvPT3_S4_i,"axG",@progbits,_Z25warp_store_guarded_kernelILj1024ELj4ELj32ELN7rocprim17ROCPRIM_304000_NS17warp_store_methodE3EiEvPT3_S4_i,comdat
.Lfunc_end68:
	.size	_Z25warp_store_guarded_kernelILj1024ELj4ELj32ELN7rocprim17ROCPRIM_304000_NS17warp_store_methodE3EiEvPT3_S4_i, .Lfunc_end68-_Z25warp_store_guarded_kernelILj1024ELj4ELj32ELN7rocprim17ROCPRIM_304000_NS17warp_store_methodE3EiEvPT3_S4_i
                                        ; -- End function
	.section	.AMDGPU.csdata,"",@progbits
; Kernel info:
; codeLenInByte = 304
; NumSgprs: 10
; NumVgprs: 9
; ScratchSize: 0
; MemoryBound: 0
; FloatMode: 240
; IeeeMode: 1
; LDSByteSize: 16384 bytes/workgroup (compile time only)
; SGPRBlocks: 1
; VGPRBlocks: 1
; NumSGPRsForWavesPerEU: 10
; NumVGPRsForWavesPerEU: 9
; Occupancy: 16
; WaveLimiterHint : 0
; COMPUTE_PGM_RSRC2:SCRATCH_EN: 0
; COMPUTE_PGM_RSRC2:USER_SGPR: 15
; COMPUTE_PGM_RSRC2:TRAP_HANDLER: 0
; COMPUTE_PGM_RSRC2:TGID_X_EN: 1
; COMPUTE_PGM_RSRC2:TGID_Y_EN: 0
; COMPUTE_PGM_RSRC2:TGID_Z_EN: 0
; COMPUTE_PGM_RSRC2:TIDIG_COMP_CNT: 0
	.section	.text._Z25warp_store_guarded_kernelILj1024ELj4ELj32ELN7rocprim17ROCPRIM_304000_NS17warp_store_methodE2EiEvPT3_S4_i,"axG",@progbits,_Z25warp_store_guarded_kernelILj1024ELj4ELj32ELN7rocprim17ROCPRIM_304000_NS17warp_store_methodE2EiEvPT3_S4_i,comdat
	.protected	_Z25warp_store_guarded_kernelILj1024ELj4ELj32ELN7rocprim17ROCPRIM_304000_NS17warp_store_methodE2EiEvPT3_S4_i ; -- Begin function _Z25warp_store_guarded_kernelILj1024ELj4ELj32ELN7rocprim17ROCPRIM_304000_NS17warp_store_methodE2EiEvPT3_S4_i
	.globl	_Z25warp_store_guarded_kernelILj1024ELj4ELj32ELN7rocprim17ROCPRIM_304000_NS17warp_store_methodE2EiEvPT3_S4_i
	.p2align	8
	.type	_Z25warp_store_guarded_kernelILj1024ELj4ELj32ELN7rocprim17ROCPRIM_304000_NS17warp_store_methodE2EiEvPT3_S4_i,@function
_Z25warp_store_guarded_kernelILj1024ELj4ELj32ELN7rocprim17ROCPRIM_304000_NS17warp_store_methodE2EiEvPT3_S4_i: ; @_Z25warp_store_guarded_kernelILj1024ELj4ELj32ELN7rocprim17ROCPRIM_304000_NS17warp_store_methodE2EiEvPT3_S4_i
; %bb.0:
	s_load_b128 s[4:7], s[0:1], 0x0
	v_lshlrev_b32_e32 v6, 4, v0
	s_load_b32 s0, s[0:1], 0x10
	v_mbcnt_lo_u32_b32 v3, -1, 0
	s_delay_alu instid0(VALU_DEP_2) | instskip(NEXT) | instid1(VALU_DEP_2)
	v_and_b32_e32 v4, 0x3e00, v6
	v_lshlrev_b32_e32 v7, 4, v3
	v_lshlrev_b32_e32 v5, 2, v3
	s_waitcnt lgkmcnt(0)
	global_load_b96 v[0:2], v6, s[4:5] offset:4
	v_add_co_u32 v4, s1, s6, v4
	s_delay_alu instid0(VALU_DEP_1) | instskip(SKIP_1) | instid1(VALU_DEP_2)
	v_add_co_ci_u32_e64 v8, null, s7, 0, s1
	s_mov_b32 s1, exec_lo
	v_add_co_u32 v3, vcc_lo, v4, v7
	s_delay_alu instid0(VALU_DEP_2)
	v_add_co_ci_u32_e32 v4, vcc_lo, 0, v8, vcc_lo
	v_cmpx_gt_u32_e64 s0, v5
	s_cbranch_execz .LBB69_2
; %bb.1:
	v_add_co_u32 v6, s2, s4, v6
	s_delay_alu instid0(VALU_DEP_1)
	v_add_co_ci_u32_e64 v7, null, s5, 0, s2
	global_load_b32 v6, v[6:7], off
	s_waitcnt vmcnt(0)
	global_store_b32 v[3:4], v6, off
.LBB69_2:
	s_or_b32 exec_lo, exec_lo, s1
	v_or_b32_e32 v6, 1, v5
	s_mov_b32 s1, exec_lo
	s_delay_alu instid0(VALU_DEP_1)
	v_cmpx_gt_u32_e64 s0, v6
	s_cbranch_execz .LBB69_4
; %bb.3:
	s_waitcnt vmcnt(0)
	global_store_b32 v[3:4], v0, off offset:4
.LBB69_4:
	s_or_b32 exec_lo, exec_lo, s1
	s_waitcnt vmcnt(0)
	v_or_b32_e32 v0, 2, v5
	s_mov_b32 s1, exec_lo
	s_delay_alu instid0(VALU_DEP_1)
	v_cmpx_gt_u32_e64 s0, v0
	s_cbranch_execz .LBB69_6
; %bb.5:
	global_store_b32 v[3:4], v1, off offset:8
.LBB69_6:
	s_or_b32 exec_lo, exec_lo, s1
	v_or_b32_e32 v0, 3, v5
	s_delay_alu instid0(VALU_DEP_1)
	v_cmp_gt_u32_e32 vcc_lo, s0, v0
	s_and_saveexec_b32 s0, vcc_lo
	s_cbranch_execz .LBB69_8
; %bb.7:
	global_store_b32 v[3:4], v2, off offset:12
.LBB69_8:
	s_nop 0
	s_sendmsg sendmsg(MSG_DEALLOC_VGPRS)
	s_endpgm
	.section	.rodata,"a",@progbits
	.p2align	6, 0x0
	.amdhsa_kernel _Z25warp_store_guarded_kernelILj1024ELj4ELj32ELN7rocprim17ROCPRIM_304000_NS17warp_store_methodE2EiEvPT3_S4_i
		.amdhsa_group_segment_fixed_size 0
		.amdhsa_private_segment_fixed_size 0
		.amdhsa_kernarg_size 20
		.amdhsa_user_sgpr_count 15
		.amdhsa_user_sgpr_dispatch_ptr 0
		.amdhsa_user_sgpr_queue_ptr 0
		.amdhsa_user_sgpr_kernarg_segment_ptr 1
		.amdhsa_user_sgpr_dispatch_id 0
		.amdhsa_user_sgpr_private_segment_size 0
		.amdhsa_wavefront_size32 1
		.amdhsa_uses_dynamic_stack 0
		.amdhsa_enable_private_segment 0
		.amdhsa_system_sgpr_workgroup_id_x 1
		.amdhsa_system_sgpr_workgroup_id_y 0
		.amdhsa_system_sgpr_workgroup_id_z 0
		.amdhsa_system_sgpr_workgroup_info 0
		.amdhsa_system_vgpr_workitem_id 0
		.amdhsa_next_free_vgpr 9
		.amdhsa_next_free_sgpr 8
		.amdhsa_reserve_vcc 1
		.amdhsa_float_round_mode_32 0
		.amdhsa_float_round_mode_16_64 0
		.amdhsa_float_denorm_mode_32 3
		.amdhsa_float_denorm_mode_16_64 3
		.amdhsa_dx10_clamp 1
		.amdhsa_ieee_mode 1
		.amdhsa_fp16_overflow 0
		.amdhsa_workgroup_processor_mode 1
		.amdhsa_memory_ordered 1
		.amdhsa_forward_progress 0
		.amdhsa_shared_vgpr_count 0
		.amdhsa_exception_fp_ieee_invalid_op 0
		.amdhsa_exception_fp_denorm_src 0
		.amdhsa_exception_fp_ieee_div_zero 0
		.amdhsa_exception_fp_ieee_overflow 0
		.amdhsa_exception_fp_ieee_underflow 0
		.amdhsa_exception_fp_ieee_inexact 0
		.amdhsa_exception_int_div_zero 0
	.end_amdhsa_kernel
	.section	.text._Z25warp_store_guarded_kernelILj1024ELj4ELj32ELN7rocprim17ROCPRIM_304000_NS17warp_store_methodE2EiEvPT3_S4_i,"axG",@progbits,_Z25warp_store_guarded_kernelILj1024ELj4ELj32ELN7rocprim17ROCPRIM_304000_NS17warp_store_methodE2EiEvPT3_S4_i,comdat
.Lfunc_end69:
	.size	_Z25warp_store_guarded_kernelILj1024ELj4ELj32ELN7rocprim17ROCPRIM_304000_NS17warp_store_methodE2EiEvPT3_S4_i, .Lfunc_end69-_Z25warp_store_guarded_kernelILj1024ELj4ELj32ELN7rocprim17ROCPRIM_304000_NS17warp_store_methodE2EiEvPT3_S4_i
                                        ; -- End function
	.section	.AMDGPU.csdata,"",@progbits
; Kernel info:
; codeLenInByte = 276
; NumSgprs: 10
; NumVgprs: 9
; ScratchSize: 0
; MemoryBound: 0
; FloatMode: 240
; IeeeMode: 1
; LDSByteSize: 0 bytes/workgroup (compile time only)
; SGPRBlocks: 1
; VGPRBlocks: 1
; NumSGPRsForWavesPerEU: 10
; NumVGPRsForWavesPerEU: 9
; Occupancy: 16
; WaveLimiterHint : 0
; COMPUTE_PGM_RSRC2:SCRATCH_EN: 0
; COMPUTE_PGM_RSRC2:USER_SGPR: 15
; COMPUTE_PGM_RSRC2:TRAP_HANDLER: 0
; COMPUTE_PGM_RSRC2:TGID_X_EN: 1
; COMPUTE_PGM_RSRC2:TGID_Y_EN: 0
; COMPUTE_PGM_RSRC2:TGID_Z_EN: 0
; COMPUTE_PGM_RSRC2:TIDIG_COMP_CNT: 0
	.section	.text._Z25warp_store_guarded_kernelILj1024ELj4ELj32ELN7rocprim17ROCPRIM_304000_NS17warp_store_methodE1EiEvPT3_S4_i,"axG",@progbits,_Z25warp_store_guarded_kernelILj1024ELj4ELj32ELN7rocprim17ROCPRIM_304000_NS17warp_store_methodE1EiEvPT3_S4_i,comdat
	.protected	_Z25warp_store_guarded_kernelILj1024ELj4ELj32ELN7rocprim17ROCPRIM_304000_NS17warp_store_methodE1EiEvPT3_S4_i ; -- Begin function _Z25warp_store_guarded_kernelILj1024ELj4ELj32ELN7rocprim17ROCPRIM_304000_NS17warp_store_methodE1EiEvPT3_S4_i
	.globl	_Z25warp_store_guarded_kernelILj1024ELj4ELj32ELN7rocprim17ROCPRIM_304000_NS17warp_store_methodE1EiEvPT3_S4_i
	.p2align	8
	.type	_Z25warp_store_guarded_kernelILj1024ELj4ELj32ELN7rocprim17ROCPRIM_304000_NS17warp_store_methodE1EiEvPT3_S4_i,@function
_Z25warp_store_guarded_kernelILj1024ELj4ELj32ELN7rocprim17ROCPRIM_304000_NS17warp_store_methodE1EiEvPT3_S4_i: ; @_Z25warp_store_guarded_kernelILj1024ELj4ELj32ELN7rocprim17ROCPRIM_304000_NS17warp_store_methodE1EiEvPT3_S4_i
; %bb.0:
	s_load_b128 s[4:7], s[0:1], 0x0
	v_lshlrev_b32_e32 v6, 4, v0
	s_load_b32 s0, s[0:1], 0x10
	v_mbcnt_lo_u32_b32 v5, -1, 0
	s_delay_alu instid0(VALU_DEP_2) | instskip(NEXT) | instid1(VALU_DEP_2)
	v_and_b32_e32 v3, 0x3e00, v6
	v_lshlrev_b32_e32 v4, 2, v5
	s_waitcnt lgkmcnt(0)
	global_load_b96 v[0:2], v6, s[4:5] offset:4
	v_add_co_u32 v3, s1, s6, v3
	s_delay_alu instid0(VALU_DEP_1) | instskip(SKIP_1) | instid1(VALU_DEP_2)
	v_add_co_ci_u32_e64 v7, null, s7, 0, s1
	s_mov_b32 s1, exec_lo
	v_add_co_u32 v3, vcc_lo, v3, v4
	s_delay_alu instid0(VALU_DEP_2)
	v_add_co_ci_u32_e32 v4, vcc_lo, 0, v7, vcc_lo
	v_cmpx_gt_u32_e64 s0, v5
	s_cbranch_execz .LBB70_2
; %bb.1:
	v_add_co_u32 v6, s2, s4, v6
	s_delay_alu instid0(VALU_DEP_1)
	v_add_co_ci_u32_e64 v7, null, s5, 0, s2
	global_load_b32 v6, v[6:7], off
	s_waitcnt vmcnt(0)
	global_store_b32 v[3:4], v6, off
.LBB70_2:
	s_or_b32 exec_lo, exec_lo, s1
	v_or_b32_e32 v6, 32, v5
	s_mov_b32 s1, exec_lo
	s_delay_alu instid0(VALU_DEP_1)
	v_cmpx_gt_u32_e64 s0, v6
	s_cbranch_execz .LBB70_4
; %bb.3:
	s_waitcnt vmcnt(0)
	global_store_b32 v[3:4], v0, off offset:128
.LBB70_4:
	s_or_b32 exec_lo, exec_lo, s1
	s_waitcnt vmcnt(0)
	v_or_b32_e32 v0, 64, v5
	s_mov_b32 s1, exec_lo
	s_delay_alu instid0(VALU_DEP_1)
	v_cmpx_gt_u32_e64 s0, v0
	s_cbranch_execz .LBB70_6
; %bb.5:
	global_store_b32 v[3:4], v1, off offset:256
.LBB70_6:
	s_or_b32 exec_lo, exec_lo, s1
	v_or_b32_e32 v0, 0x60, v5
	s_delay_alu instid0(VALU_DEP_1)
	v_cmp_gt_u32_e32 vcc_lo, s0, v0
	s_and_saveexec_b32 s0, vcc_lo
	s_cbranch_execz .LBB70_8
; %bb.7:
	global_store_b32 v[3:4], v2, off offset:384
.LBB70_8:
	s_nop 0
	s_sendmsg sendmsg(MSG_DEALLOC_VGPRS)
	s_endpgm
	.section	.rodata,"a",@progbits
	.p2align	6, 0x0
	.amdhsa_kernel _Z25warp_store_guarded_kernelILj1024ELj4ELj32ELN7rocprim17ROCPRIM_304000_NS17warp_store_methodE1EiEvPT3_S4_i
		.amdhsa_group_segment_fixed_size 0
		.amdhsa_private_segment_fixed_size 0
		.amdhsa_kernarg_size 20
		.amdhsa_user_sgpr_count 15
		.amdhsa_user_sgpr_dispatch_ptr 0
		.amdhsa_user_sgpr_queue_ptr 0
		.amdhsa_user_sgpr_kernarg_segment_ptr 1
		.amdhsa_user_sgpr_dispatch_id 0
		.amdhsa_user_sgpr_private_segment_size 0
		.amdhsa_wavefront_size32 1
		.amdhsa_uses_dynamic_stack 0
		.amdhsa_enable_private_segment 0
		.amdhsa_system_sgpr_workgroup_id_x 1
		.amdhsa_system_sgpr_workgroup_id_y 0
		.amdhsa_system_sgpr_workgroup_id_z 0
		.amdhsa_system_sgpr_workgroup_info 0
		.amdhsa_system_vgpr_workitem_id 0
		.amdhsa_next_free_vgpr 8
		.amdhsa_next_free_sgpr 8
		.amdhsa_reserve_vcc 1
		.amdhsa_float_round_mode_32 0
		.amdhsa_float_round_mode_16_64 0
		.amdhsa_float_denorm_mode_32 3
		.amdhsa_float_denorm_mode_16_64 3
		.amdhsa_dx10_clamp 1
		.amdhsa_ieee_mode 1
		.amdhsa_fp16_overflow 0
		.amdhsa_workgroup_processor_mode 1
		.amdhsa_memory_ordered 1
		.amdhsa_forward_progress 0
		.amdhsa_shared_vgpr_count 0
		.amdhsa_exception_fp_ieee_invalid_op 0
		.amdhsa_exception_fp_denorm_src 0
		.amdhsa_exception_fp_ieee_div_zero 0
		.amdhsa_exception_fp_ieee_overflow 0
		.amdhsa_exception_fp_ieee_underflow 0
		.amdhsa_exception_fp_ieee_inexact 0
		.amdhsa_exception_int_div_zero 0
	.end_amdhsa_kernel
	.section	.text._Z25warp_store_guarded_kernelILj1024ELj4ELj32ELN7rocprim17ROCPRIM_304000_NS17warp_store_methodE1EiEvPT3_S4_i,"axG",@progbits,_Z25warp_store_guarded_kernelILj1024ELj4ELj32ELN7rocprim17ROCPRIM_304000_NS17warp_store_methodE1EiEvPT3_S4_i,comdat
.Lfunc_end70:
	.size	_Z25warp_store_guarded_kernelILj1024ELj4ELj32ELN7rocprim17ROCPRIM_304000_NS17warp_store_methodE1EiEvPT3_S4_i, .Lfunc_end70-_Z25warp_store_guarded_kernelILj1024ELj4ELj32ELN7rocprim17ROCPRIM_304000_NS17warp_store_methodE1EiEvPT3_S4_i
                                        ; -- End function
	.section	.AMDGPU.csdata,"",@progbits
; Kernel info:
; codeLenInByte = 276
; NumSgprs: 10
; NumVgprs: 8
; ScratchSize: 0
; MemoryBound: 0
; FloatMode: 240
; IeeeMode: 1
; LDSByteSize: 0 bytes/workgroup (compile time only)
; SGPRBlocks: 1
; VGPRBlocks: 0
; NumSGPRsForWavesPerEU: 10
; NumVGPRsForWavesPerEU: 8
; Occupancy: 16
; WaveLimiterHint : 0
; COMPUTE_PGM_RSRC2:SCRATCH_EN: 0
; COMPUTE_PGM_RSRC2:USER_SGPR: 15
; COMPUTE_PGM_RSRC2:TRAP_HANDLER: 0
; COMPUTE_PGM_RSRC2:TGID_X_EN: 1
; COMPUTE_PGM_RSRC2:TGID_Y_EN: 0
; COMPUTE_PGM_RSRC2:TGID_Z_EN: 0
; COMPUTE_PGM_RSRC2:TIDIG_COMP_CNT: 0
	.section	.text._Z25warp_store_guarded_kernelILj1024ELj4ELj32ELN7rocprim17ROCPRIM_304000_NS17warp_store_methodE0EiEvPT3_S4_i,"axG",@progbits,_Z25warp_store_guarded_kernelILj1024ELj4ELj32ELN7rocprim17ROCPRIM_304000_NS17warp_store_methodE0EiEvPT3_S4_i,comdat
	.protected	_Z25warp_store_guarded_kernelILj1024ELj4ELj32ELN7rocprim17ROCPRIM_304000_NS17warp_store_methodE0EiEvPT3_S4_i ; -- Begin function _Z25warp_store_guarded_kernelILj1024ELj4ELj32ELN7rocprim17ROCPRIM_304000_NS17warp_store_methodE0EiEvPT3_S4_i
	.globl	_Z25warp_store_guarded_kernelILj1024ELj4ELj32ELN7rocprim17ROCPRIM_304000_NS17warp_store_methodE0EiEvPT3_S4_i
	.p2align	8
	.type	_Z25warp_store_guarded_kernelILj1024ELj4ELj32ELN7rocprim17ROCPRIM_304000_NS17warp_store_methodE0EiEvPT3_S4_i,@function
_Z25warp_store_guarded_kernelILj1024ELj4ELj32ELN7rocprim17ROCPRIM_304000_NS17warp_store_methodE0EiEvPT3_S4_i: ; @_Z25warp_store_guarded_kernelILj1024ELj4ELj32ELN7rocprim17ROCPRIM_304000_NS17warp_store_methodE0EiEvPT3_S4_i
; %bb.0:
	s_load_b128 s[4:7], s[0:1], 0x0
	v_lshlrev_b32_e32 v6, 4, v0
	s_load_b32 s0, s[0:1], 0x10
	v_mbcnt_lo_u32_b32 v3, -1, 0
	s_delay_alu instid0(VALU_DEP_2) | instskip(NEXT) | instid1(VALU_DEP_2)
	v_and_b32_e32 v4, 0x3e00, v6
	v_lshlrev_b32_e32 v7, 4, v3
	v_lshlrev_b32_e32 v5, 2, v3
	s_waitcnt lgkmcnt(0)
	global_load_b96 v[0:2], v6, s[4:5] offset:4
	v_add_co_u32 v4, s1, s6, v4
	s_delay_alu instid0(VALU_DEP_1) | instskip(SKIP_1) | instid1(VALU_DEP_2)
	v_add_co_ci_u32_e64 v8, null, s7, 0, s1
	s_mov_b32 s1, exec_lo
	v_add_co_u32 v3, vcc_lo, v4, v7
	s_delay_alu instid0(VALU_DEP_2)
	v_add_co_ci_u32_e32 v4, vcc_lo, 0, v8, vcc_lo
	v_cmpx_gt_u32_e64 s0, v5
	s_cbranch_execz .LBB71_2
; %bb.1:
	v_add_co_u32 v6, s2, s4, v6
	s_delay_alu instid0(VALU_DEP_1)
	v_add_co_ci_u32_e64 v7, null, s5, 0, s2
	global_load_b32 v6, v[6:7], off
	s_waitcnt vmcnt(0)
	global_store_b32 v[3:4], v6, off
.LBB71_2:
	s_or_b32 exec_lo, exec_lo, s1
	v_or_b32_e32 v6, 1, v5
	s_mov_b32 s1, exec_lo
	s_delay_alu instid0(VALU_DEP_1)
	v_cmpx_gt_u32_e64 s0, v6
	s_cbranch_execz .LBB71_4
; %bb.3:
	s_waitcnt vmcnt(0)
	global_store_b32 v[3:4], v0, off offset:4
.LBB71_4:
	s_or_b32 exec_lo, exec_lo, s1
	s_waitcnt vmcnt(0)
	v_or_b32_e32 v0, 2, v5
	s_mov_b32 s1, exec_lo
	s_delay_alu instid0(VALU_DEP_1)
	v_cmpx_gt_u32_e64 s0, v0
	s_cbranch_execz .LBB71_6
; %bb.5:
	global_store_b32 v[3:4], v1, off offset:8
.LBB71_6:
	s_or_b32 exec_lo, exec_lo, s1
	v_or_b32_e32 v0, 3, v5
	s_delay_alu instid0(VALU_DEP_1)
	v_cmp_gt_u32_e32 vcc_lo, s0, v0
	s_and_saveexec_b32 s0, vcc_lo
	s_cbranch_execz .LBB71_8
; %bb.7:
	global_store_b32 v[3:4], v2, off offset:12
.LBB71_8:
	s_nop 0
	s_sendmsg sendmsg(MSG_DEALLOC_VGPRS)
	s_endpgm
	.section	.rodata,"a",@progbits
	.p2align	6, 0x0
	.amdhsa_kernel _Z25warp_store_guarded_kernelILj1024ELj4ELj32ELN7rocprim17ROCPRIM_304000_NS17warp_store_methodE0EiEvPT3_S4_i
		.amdhsa_group_segment_fixed_size 0
		.amdhsa_private_segment_fixed_size 0
		.amdhsa_kernarg_size 20
		.amdhsa_user_sgpr_count 15
		.amdhsa_user_sgpr_dispatch_ptr 0
		.amdhsa_user_sgpr_queue_ptr 0
		.amdhsa_user_sgpr_kernarg_segment_ptr 1
		.amdhsa_user_sgpr_dispatch_id 0
		.amdhsa_user_sgpr_private_segment_size 0
		.amdhsa_wavefront_size32 1
		.amdhsa_uses_dynamic_stack 0
		.amdhsa_enable_private_segment 0
		.amdhsa_system_sgpr_workgroup_id_x 1
		.amdhsa_system_sgpr_workgroup_id_y 0
		.amdhsa_system_sgpr_workgroup_id_z 0
		.amdhsa_system_sgpr_workgroup_info 0
		.amdhsa_system_vgpr_workitem_id 0
		.amdhsa_next_free_vgpr 9
		.amdhsa_next_free_sgpr 8
		.amdhsa_reserve_vcc 1
		.amdhsa_float_round_mode_32 0
		.amdhsa_float_round_mode_16_64 0
		.amdhsa_float_denorm_mode_32 3
		.amdhsa_float_denorm_mode_16_64 3
		.amdhsa_dx10_clamp 1
		.amdhsa_ieee_mode 1
		.amdhsa_fp16_overflow 0
		.amdhsa_workgroup_processor_mode 1
		.amdhsa_memory_ordered 1
		.amdhsa_forward_progress 0
		.amdhsa_shared_vgpr_count 0
		.amdhsa_exception_fp_ieee_invalid_op 0
		.amdhsa_exception_fp_denorm_src 0
		.amdhsa_exception_fp_ieee_div_zero 0
		.amdhsa_exception_fp_ieee_overflow 0
		.amdhsa_exception_fp_ieee_underflow 0
		.amdhsa_exception_fp_ieee_inexact 0
		.amdhsa_exception_int_div_zero 0
	.end_amdhsa_kernel
	.section	.text._Z25warp_store_guarded_kernelILj1024ELj4ELj32ELN7rocprim17ROCPRIM_304000_NS17warp_store_methodE0EiEvPT3_S4_i,"axG",@progbits,_Z25warp_store_guarded_kernelILj1024ELj4ELj32ELN7rocprim17ROCPRIM_304000_NS17warp_store_methodE0EiEvPT3_S4_i,comdat
.Lfunc_end71:
	.size	_Z25warp_store_guarded_kernelILj1024ELj4ELj32ELN7rocprim17ROCPRIM_304000_NS17warp_store_methodE0EiEvPT3_S4_i, .Lfunc_end71-_Z25warp_store_guarded_kernelILj1024ELj4ELj32ELN7rocprim17ROCPRIM_304000_NS17warp_store_methodE0EiEvPT3_S4_i
                                        ; -- End function
	.section	.AMDGPU.csdata,"",@progbits
; Kernel info:
; codeLenInByte = 276
; NumSgprs: 10
; NumVgprs: 9
; ScratchSize: 0
; MemoryBound: 0
; FloatMode: 240
; IeeeMode: 1
; LDSByteSize: 0 bytes/workgroup (compile time only)
; SGPRBlocks: 1
; VGPRBlocks: 1
; NumSGPRsForWavesPerEU: 10
; NumVGPRsForWavesPerEU: 9
; Occupancy: 16
; WaveLimiterHint : 0
; COMPUTE_PGM_RSRC2:SCRATCH_EN: 0
; COMPUTE_PGM_RSRC2:USER_SGPR: 15
; COMPUTE_PGM_RSRC2:TRAP_HANDLER: 0
; COMPUTE_PGM_RSRC2:TGID_X_EN: 1
; COMPUTE_PGM_RSRC2:TGID_Y_EN: 0
; COMPUTE_PGM_RSRC2:TGID_Z_EN: 0
; COMPUTE_PGM_RSRC2:TIDIG_COMP_CNT: 0
	.section	.text._Z25warp_store_guarded_kernelILj1024ELj4ELj8ELN7rocprim17ROCPRIM_304000_NS17warp_store_methodE3EiEvPT3_S4_i,"axG",@progbits,_Z25warp_store_guarded_kernelILj1024ELj4ELj8ELN7rocprim17ROCPRIM_304000_NS17warp_store_methodE3EiEvPT3_S4_i,comdat
	.protected	_Z25warp_store_guarded_kernelILj1024ELj4ELj8ELN7rocprim17ROCPRIM_304000_NS17warp_store_methodE3EiEvPT3_S4_i ; -- Begin function _Z25warp_store_guarded_kernelILj1024ELj4ELj8ELN7rocprim17ROCPRIM_304000_NS17warp_store_methodE3EiEvPT3_S4_i
	.globl	_Z25warp_store_guarded_kernelILj1024ELj4ELj8ELN7rocprim17ROCPRIM_304000_NS17warp_store_methodE3EiEvPT3_S4_i
	.p2align	8
	.type	_Z25warp_store_guarded_kernelILj1024ELj4ELj8ELN7rocprim17ROCPRIM_304000_NS17warp_store_methodE3EiEvPT3_S4_i,@function
_Z25warp_store_guarded_kernelILj1024ELj4ELj8ELN7rocprim17ROCPRIM_304000_NS17warp_store_methodE3EiEvPT3_S4_i: ; @_Z25warp_store_guarded_kernelILj1024ELj4ELj8ELN7rocprim17ROCPRIM_304000_NS17warp_store_methodE3EiEvPT3_S4_i
; %bb.0:
	s_load_b128 s[4:7], s[0:1], 0x0
	v_lshlrev_b32_e32 v5, 4, v0
	v_mbcnt_lo_u32_b32 v4, -1, 0
	s_load_b32 s0, s[0:1], 0x10
	s_delay_alu instid0(VALU_DEP_2) | instskip(NEXT) | instid1(VALU_DEP_2)
	v_and_b32_e32 v7, 0x3f80, v5
	v_and_b32_e32 v4, 7, v4
	s_delay_alu instid0(VALU_DEP_1)
	v_lshl_or_b32 v6, v4, 4, v7
	s_waitcnt lgkmcnt(0)
	global_load_b128 v[0:3], v5, s[4:5]
	v_mad_i32_i24 v5, v4, -12, v6
	s_waitcnt vmcnt(0)
	ds_store_b128 v6, v[0:3]
	; wave barrier
	ds_load_2addr_b32 v[2:3], v5 offset0:8 offset1:16
	ds_load_b32 v5, v5 offset:96
	v_lshlrev_b32_e32 v0, 2, v4
	v_add_co_u32 v1, s1, s6, v7
	s_delay_alu instid0(VALU_DEP_1) | instskip(SKIP_1) | instid1(VALU_DEP_2)
	v_add_co_ci_u32_e64 v7, null, s7, 0, s1
	s_mov_b32 s1, exec_lo
	v_add_co_u32 v0, vcc_lo, v1, v0
	s_delay_alu instid0(VALU_DEP_2)
	v_add_co_ci_u32_e32 v1, vcc_lo, 0, v7, vcc_lo
	v_cmpx_gt_u32_e64 s0, v4
	s_cbranch_execz .LBB72_2
; %bb.1:
	v_mul_i32_i24_e32 v7, -12, v4
	s_delay_alu instid0(VALU_DEP_1)
	v_add_nc_u32_e32 v6, v6, v7
	ds_load_b32 v6, v6
	s_waitcnt lgkmcnt(0)
	global_store_b32 v[0:1], v6, off
.LBB72_2:
	s_or_b32 exec_lo, exec_lo, s1
	v_or_b32_e32 v6, 8, v4
	s_mov_b32 s1, exec_lo
	s_delay_alu instid0(VALU_DEP_1)
	v_cmpx_gt_u32_e64 s0, v6
	s_cbranch_execz .LBB72_4
; %bb.3:
	s_waitcnt lgkmcnt(1)
	global_store_b32 v[0:1], v2, off offset:32
.LBB72_4:
	s_or_b32 exec_lo, exec_lo, s1
	s_waitcnt lgkmcnt(1)
	v_or_b32_e32 v2, 16, v4
	s_mov_b32 s1, exec_lo
	s_delay_alu instid0(VALU_DEP_1)
	v_cmpx_gt_u32_e64 s0, v2
	s_cbranch_execz .LBB72_6
; %bb.5:
	global_store_b32 v[0:1], v3, off offset:64
.LBB72_6:
	s_or_b32 exec_lo, exec_lo, s1
	v_or_b32_e32 v2, 24, v4
	s_delay_alu instid0(VALU_DEP_1)
	v_cmp_gt_u32_e32 vcc_lo, s0, v2
	s_and_saveexec_b32 s0, vcc_lo
	s_cbranch_execz .LBB72_8
; %bb.7:
	s_waitcnt lgkmcnt(0)
	global_store_b32 v[0:1], v5, off offset:96
.LBB72_8:
	s_nop 0
	s_sendmsg sendmsg(MSG_DEALLOC_VGPRS)
	s_endpgm
	.section	.rodata,"a",@progbits
	.p2align	6, 0x0
	.amdhsa_kernel _Z25warp_store_guarded_kernelILj1024ELj4ELj8ELN7rocprim17ROCPRIM_304000_NS17warp_store_methodE3EiEvPT3_S4_i
		.amdhsa_group_segment_fixed_size 16384
		.amdhsa_private_segment_fixed_size 0
		.amdhsa_kernarg_size 20
		.amdhsa_user_sgpr_count 15
		.amdhsa_user_sgpr_dispatch_ptr 0
		.amdhsa_user_sgpr_queue_ptr 0
		.amdhsa_user_sgpr_kernarg_segment_ptr 1
		.amdhsa_user_sgpr_dispatch_id 0
		.amdhsa_user_sgpr_private_segment_size 0
		.amdhsa_wavefront_size32 1
		.amdhsa_uses_dynamic_stack 0
		.amdhsa_enable_private_segment 0
		.amdhsa_system_sgpr_workgroup_id_x 1
		.amdhsa_system_sgpr_workgroup_id_y 0
		.amdhsa_system_sgpr_workgroup_id_z 0
		.amdhsa_system_sgpr_workgroup_info 0
		.amdhsa_system_vgpr_workitem_id 0
		.amdhsa_next_free_vgpr 8
		.amdhsa_next_free_sgpr 8
		.amdhsa_reserve_vcc 1
		.amdhsa_float_round_mode_32 0
		.amdhsa_float_round_mode_16_64 0
		.amdhsa_float_denorm_mode_32 3
		.amdhsa_float_denorm_mode_16_64 3
		.amdhsa_dx10_clamp 1
		.amdhsa_ieee_mode 1
		.amdhsa_fp16_overflow 0
		.amdhsa_workgroup_processor_mode 1
		.amdhsa_memory_ordered 1
		.amdhsa_forward_progress 0
		.amdhsa_shared_vgpr_count 0
		.amdhsa_exception_fp_ieee_invalid_op 0
		.amdhsa_exception_fp_denorm_src 0
		.amdhsa_exception_fp_ieee_div_zero 0
		.amdhsa_exception_fp_ieee_overflow 0
		.amdhsa_exception_fp_ieee_underflow 0
		.amdhsa_exception_fp_ieee_inexact 0
		.amdhsa_exception_int_div_zero 0
	.end_amdhsa_kernel
	.section	.text._Z25warp_store_guarded_kernelILj1024ELj4ELj8ELN7rocprim17ROCPRIM_304000_NS17warp_store_methodE3EiEvPT3_S4_i,"axG",@progbits,_Z25warp_store_guarded_kernelILj1024ELj4ELj8ELN7rocprim17ROCPRIM_304000_NS17warp_store_methodE3EiEvPT3_S4_i,comdat
.Lfunc_end72:
	.size	_Z25warp_store_guarded_kernelILj1024ELj4ELj8ELN7rocprim17ROCPRIM_304000_NS17warp_store_methodE3EiEvPT3_S4_i, .Lfunc_end72-_Z25warp_store_guarded_kernelILj1024ELj4ELj8ELN7rocprim17ROCPRIM_304000_NS17warp_store_methodE3EiEvPT3_S4_i
                                        ; -- End function
	.section	.AMDGPU.csdata,"",@progbits
; Kernel info:
; codeLenInByte = 320
; NumSgprs: 10
; NumVgprs: 8
; ScratchSize: 0
; MemoryBound: 0
; FloatMode: 240
; IeeeMode: 1
; LDSByteSize: 16384 bytes/workgroup (compile time only)
; SGPRBlocks: 1
; VGPRBlocks: 0
; NumSGPRsForWavesPerEU: 10
; NumVGPRsForWavesPerEU: 8
; Occupancy: 16
; WaveLimiterHint : 0
; COMPUTE_PGM_RSRC2:SCRATCH_EN: 0
; COMPUTE_PGM_RSRC2:USER_SGPR: 15
; COMPUTE_PGM_RSRC2:TRAP_HANDLER: 0
; COMPUTE_PGM_RSRC2:TGID_X_EN: 1
; COMPUTE_PGM_RSRC2:TGID_Y_EN: 0
; COMPUTE_PGM_RSRC2:TGID_Z_EN: 0
; COMPUTE_PGM_RSRC2:TIDIG_COMP_CNT: 0
	.section	.text._Z25warp_store_guarded_kernelILj1024ELj4ELj8ELN7rocprim17ROCPRIM_304000_NS17warp_store_methodE2EiEvPT3_S4_i,"axG",@progbits,_Z25warp_store_guarded_kernelILj1024ELj4ELj8ELN7rocprim17ROCPRIM_304000_NS17warp_store_methodE2EiEvPT3_S4_i,comdat
	.protected	_Z25warp_store_guarded_kernelILj1024ELj4ELj8ELN7rocprim17ROCPRIM_304000_NS17warp_store_methodE2EiEvPT3_S4_i ; -- Begin function _Z25warp_store_guarded_kernelILj1024ELj4ELj8ELN7rocprim17ROCPRIM_304000_NS17warp_store_methodE2EiEvPT3_S4_i
	.globl	_Z25warp_store_guarded_kernelILj1024ELj4ELj8ELN7rocprim17ROCPRIM_304000_NS17warp_store_methodE2EiEvPT3_S4_i
	.p2align	8
	.type	_Z25warp_store_guarded_kernelILj1024ELj4ELj8ELN7rocprim17ROCPRIM_304000_NS17warp_store_methodE2EiEvPT3_S4_i,@function
_Z25warp_store_guarded_kernelILj1024ELj4ELj8ELN7rocprim17ROCPRIM_304000_NS17warp_store_methodE2EiEvPT3_S4_i: ; @_Z25warp_store_guarded_kernelILj1024ELj4ELj8ELN7rocprim17ROCPRIM_304000_NS17warp_store_methodE2EiEvPT3_S4_i
; %bb.0:
	s_load_b128 s[4:7], s[0:1], 0x0
	v_lshlrev_b32_e32 v6, 4, v0
	v_mbcnt_lo_u32_b32 v3, -1, 0
	s_load_b32 s0, s[0:1], 0x10
	s_delay_alu instid0(VALU_DEP_1) | instskip(NEXT) | instid1(VALU_DEP_1)
	v_lshlrev_b32_e32 v3, 2, v3
	v_and_b32_e32 v5, 28, v3
	v_and_b32_e32 v3, 0x3f80, v6
	s_delay_alu instid0(VALU_DEP_2) | instskip(SKIP_3) | instid1(VALU_DEP_1)
	v_lshlrev_b32_e32 v4, 2, v5
	s_waitcnt lgkmcnt(0)
	global_load_b96 v[0:2], v6, s[4:5] offset:4
	v_add_co_u32 v3, s1, s6, v3
	v_add_co_ci_u32_e64 v7, null, s7, 0, s1
	s_mov_b32 s1, exec_lo
	s_delay_alu instid0(VALU_DEP_2) | instskip(NEXT) | instid1(VALU_DEP_2)
	v_add_co_u32 v3, vcc_lo, v3, v4
	v_add_co_ci_u32_e32 v4, vcc_lo, 0, v7, vcc_lo
	v_cmpx_gt_u32_e64 s0, v5
	s_cbranch_execz .LBB73_2
; %bb.1:
	v_add_co_u32 v6, s2, s4, v6
	s_delay_alu instid0(VALU_DEP_1)
	v_add_co_ci_u32_e64 v7, null, s5, 0, s2
	global_load_b32 v6, v[6:7], off
	s_waitcnt vmcnt(0)
	global_store_b32 v[3:4], v6, off
.LBB73_2:
	s_or_b32 exec_lo, exec_lo, s1
	v_or_b32_e32 v6, 1, v5
	s_mov_b32 s1, exec_lo
	s_delay_alu instid0(VALU_DEP_1)
	v_cmpx_gt_u32_e64 s0, v6
	s_cbranch_execz .LBB73_4
; %bb.3:
	s_waitcnt vmcnt(0)
	global_store_b32 v[3:4], v0, off offset:4
.LBB73_4:
	s_or_b32 exec_lo, exec_lo, s1
	s_waitcnt vmcnt(0)
	v_or_b32_e32 v0, 2, v5
	s_mov_b32 s1, exec_lo
	s_delay_alu instid0(VALU_DEP_1)
	v_cmpx_gt_u32_e64 s0, v0
	s_cbranch_execz .LBB73_6
; %bb.5:
	global_store_b32 v[3:4], v1, off offset:8
.LBB73_6:
	s_or_b32 exec_lo, exec_lo, s1
	v_or_b32_e32 v0, 3, v5
	s_delay_alu instid0(VALU_DEP_1)
	v_cmp_gt_u32_e32 vcc_lo, s0, v0
	s_and_saveexec_b32 s0, vcc_lo
	s_cbranch_execz .LBB73_8
; %bb.7:
	global_store_b32 v[3:4], v2, off offset:12
.LBB73_8:
	s_nop 0
	s_sendmsg sendmsg(MSG_DEALLOC_VGPRS)
	s_endpgm
	.section	.rodata,"a",@progbits
	.p2align	6, 0x0
	.amdhsa_kernel _Z25warp_store_guarded_kernelILj1024ELj4ELj8ELN7rocprim17ROCPRIM_304000_NS17warp_store_methodE2EiEvPT3_S4_i
		.amdhsa_group_segment_fixed_size 0
		.amdhsa_private_segment_fixed_size 0
		.amdhsa_kernarg_size 20
		.amdhsa_user_sgpr_count 15
		.amdhsa_user_sgpr_dispatch_ptr 0
		.amdhsa_user_sgpr_queue_ptr 0
		.amdhsa_user_sgpr_kernarg_segment_ptr 1
		.amdhsa_user_sgpr_dispatch_id 0
		.amdhsa_user_sgpr_private_segment_size 0
		.amdhsa_wavefront_size32 1
		.amdhsa_uses_dynamic_stack 0
		.amdhsa_enable_private_segment 0
		.amdhsa_system_sgpr_workgroup_id_x 1
		.amdhsa_system_sgpr_workgroup_id_y 0
		.amdhsa_system_sgpr_workgroup_id_z 0
		.amdhsa_system_sgpr_workgroup_info 0
		.amdhsa_system_vgpr_workitem_id 0
		.amdhsa_next_free_vgpr 8
		.amdhsa_next_free_sgpr 8
		.amdhsa_reserve_vcc 1
		.amdhsa_float_round_mode_32 0
		.amdhsa_float_round_mode_16_64 0
		.amdhsa_float_denorm_mode_32 3
		.amdhsa_float_denorm_mode_16_64 3
		.amdhsa_dx10_clamp 1
		.amdhsa_ieee_mode 1
		.amdhsa_fp16_overflow 0
		.amdhsa_workgroup_processor_mode 1
		.amdhsa_memory_ordered 1
		.amdhsa_forward_progress 0
		.amdhsa_shared_vgpr_count 0
		.amdhsa_exception_fp_ieee_invalid_op 0
		.amdhsa_exception_fp_denorm_src 0
		.amdhsa_exception_fp_ieee_div_zero 0
		.amdhsa_exception_fp_ieee_overflow 0
		.amdhsa_exception_fp_ieee_underflow 0
		.amdhsa_exception_fp_ieee_inexact 0
		.amdhsa_exception_int_div_zero 0
	.end_amdhsa_kernel
	.section	.text._Z25warp_store_guarded_kernelILj1024ELj4ELj8ELN7rocprim17ROCPRIM_304000_NS17warp_store_methodE2EiEvPT3_S4_i,"axG",@progbits,_Z25warp_store_guarded_kernelILj1024ELj4ELj8ELN7rocprim17ROCPRIM_304000_NS17warp_store_methodE2EiEvPT3_S4_i,comdat
.Lfunc_end73:
	.size	_Z25warp_store_guarded_kernelILj1024ELj4ELj8ELN7rocprim17ROCPRIM_304000_NS17warp_store_methodE2EiEvPT3_S4_i, .Lfunc_end73-_Z25warp_store_guarded_kernelILj1024ELj4ELj8ELN7rocprim17ROCPRIM_304000_NS17warp_store_methodE2EiEvPT3_S4_i
                                        ; -- End function
	.section	.AMDGPU.csdata,"",@progbits
; Kernel info:
; codeLenInByte = 280
; NumSgprs: 10
; NumVgprs: 8
; ScratchSize: 0
; MemoryBound: 0
; FloatMode: 240
; IeeeMode: 1
; LDSByteSize: 0 bytes/workgroup (compile time only)
; SGPRBlocks: 1
; VGPRBlocks: 0
; NumSGPRsForWavesPerEU: 10
; NumVGPRsForWavesPerEU: 8
; Occupancy: 16
; WaveLimiterHint : 0
; COMPUTE_PGM_RSRC2:SCRATCH_EN: 0
; COMPUTE_PGM_RSRC2:USER_SGPR: 15
; COMPUTE_PGM_RSRC2:TRAP_HANDLER: 0
; COMPUTE_PGM_RSRC2:TGID_X_EN: 1
; COMPUTE_PGM_RSRC2:TGID_Y_EN: 0
; COMPUTE_PGM_RSRC2:TGID_Z_EN: 0
; COMPUTE_PGM_RSRC2:TIDIG_COMP_CNT: 0
	.section	.text._Z25warp_store_guarded_kernelILj1024ELj4ELj8ELN7rocprim17ROCPRIM_304000_NS17warp_store_methodE1EiEvPT3_S4_i,"axG",@progbits,_Z25warp_store_guarded_kernelILj1024ELj4ELj8ELN7rocprim17ROCPRIM_304000_NS17warp_store_methodE1EiEvPT3_S4_i,comdat
	.protected	_Z25warp_store_guarded_kernelILj1024ELj4ELj8ELN7rocprim17ROCPRIM_304000_NS17warp_store_methodE1EiEvPT3_S4_i ; -- Begin function _Z25warp_store_guarded_kernelILj1024ELj4ELj8ELN7rocprim17ROCPRIM_304000_NS17warp_store_methodE1EiEvPT3_S4_i
	.globl	_Z25warp_store_guarded_kernelILj1024ELj4ELj8ELN7rocprim17ROCPRIM_304000_NS17warp_store_methodE1EiEvPT3_S4_i
	.p2align	8
	.type	_Z25warp_store_guarded_kernelILj1024ELj4ELj8ELN7rocprim17ROCPRIM_304000_NS17warp_store_methodE1EiEvPT3_S4_i,@function
_Z25warp_store_guarded_kernelILj1024ELj4ELj8ELN7rocprim17ROCPRIM_304000_NS17warp_store_methodE1EiEvPT3_S4_i: ; @_Z25warp_store_guarded_kernelILj1024ELj4ELj8ELN7rocprim17ROCPRIM_304000_NS17warp_store_methodE1EiEvPT3_S4_i
; %bb.0:
	s_load_b128 s[4:7], s[0:1], 0x0
	v_lshlrev_b32_e32 v6, 4, v0
	v_mbcnt_lo_u32_b32 v3, -1, 0
	s_load_b32 s0, s[0:1], 0x10
	s_delay_alu instid0(VALU_DEP_1) | instskip(NEXT) | instid1(VALU_DEP_3)
	v_and_b32_e32 v5, 7, v3
	v_and_b32_e32 v3, 0x3f80, v6
	s_delay_alu instid0(VALU_DEP_2) | instskip(SKIP_3) | instid1(VALU_DEP_1)
	v_lshlrev_b32_e32 v4, 2, v5
	s_waitcnt lgkmcnt(0)
	global_load_b96 v[0:2], v6, s[4:5] offset:4
	v_add_co_u32 v3, s1, s6, v3
	v_add_co_ci_u32_e64 v7, null, s7, 0, s1
	s_mov_b32 s1, exec_lo
	s_delay_alu instid0(VALU_DEP_2) | instskip(NEXT) | instid1(VALU_DEP_2)
	v_add_co_u32 v3, vcc_lo, v3, v4
	v_add_co_ci_u32_e32 v4, vcc_lo, 0, v7, vcc_lo
	v_cmpx_gt_u32_e64 s0, v5
	s_cbranch_execz .LBB74_2
; %bb.1:
	v_add_co_u32 v6, s2, s4, v6
	s_delay_alu instid0(VALU_DEP_1)
	v_add_co_ci_u32_e64 v7, null, s5, 0, s2
	global_load_b32 v6, v[6:7], off
	s_waitcnt vmcnt(0)
	global_store_b32 v[3:4], v6, off
.LBB74_2:
	s_or_b32 exec_lo, exec_lo, s1
	v_or_b32_e32 v6, 8, v5
	s_mov_b32 s1, exec_lo
	s_delay_alu instid0(VALU_DEP_1)
	v_cmpx_gt_u32_e64 s0, v6
	s_cbranch_execz .LBB74_4
; %bb.3:
	s_waitcnt vmcnt(0)
	global_store_b32 v[3:4], v0, off offset:32
.LBB74_4:
	s_or_b32 exec_lo, exec_lo, s1
	s_waitcnt vmcnt(0)
	v_or_b32_e32 v0, 16, v5
	s_mov_b32 s1, exec_lo
	s_delay_alu instid0(VALU_DEP_1)
	v_cmpx_gt_u32_e64 s0, v0
	s_cbranch_execz .LBB74_6
; %bb.5:
	global_store_b32 v[3:4], v1, off offset:64
.LBB74_6:
	s_or_b32 exec_lo, exec_lo, s1
	v_or_b32_e32 v0, 24, v5
	s_delay_alu instid0(VALU_DEP_1)
	v_cmp_gt_u32_e32 vcc_lo, s0, v0
	s_and_saveexec_b32 s0, vcc_lo
	s_cbranch_execz .LBB74_8
; %bb.7:
	global_store_b32 v[3:4], v2, off offset:96
.LBB74_8:
	s_nop 0
	s_sendmsg sendmsg(MSG_DEALLOC_VGPRS)
	s_endpgm
	.section	.rodata,"a",@progbits
	.p2align	6, 0x0
	.amdhsa_kernel _Z25warp_store_guarded_kernelILj1024ELj4ELj8ELN7rocprim17ROCPRIM_304000_NS17warp_store_methodE1EiEvPT3_S4_i
		.amdhsa_group_segment_fixed_size 0
		.amdhsa_private_segment_fixed_size 0
		.amdhsa_kernarg_size 20
		.amdhsa_user_sgpr_count 15
		.amdhsa_user_sgpr_dispatch_ptr 0
		.amdhsa_user_sgpr_queue_ptr 0
		.amdhsa_user_sgpr_kernarg_segment_ptr 1
		.amdhsa_user_sgpr_dispatch_id 0
		.amdhsa_user_sgpr_private_segment_size 0
		.amdhsa_wavefront_size32 1
		.amdhsa_uses_dynamic_stack 0
		.amdhsa_enable_private_segment 0
		.amdhsa_system_sgpr_workgroup_id_x 1
		.amdhsa_system_sgpr_workgroup_id_y 0
		.amdhsa_system_sgpr_workgroup_id_z 0
		.amdhsa_system_sgpr_workgroup_info 0
		.amdhsa_system_vgpr_workitem_id 0
		.amdhsa_next_free_vgpr 8
		.amdhsa_next_free_sgpr 8
		.amdhsa_reserve_vcc 1
		.amdhsa_float_round_mode_32 0
		.amdhsa_float_round_mode_16_64 0
		.amdhsa_float_denorm_mode_32 3
		.amdhsa_float_denorm_mode_16_64 3
		.amdhsa_dx10_clamp 1
		.amdhsa_ieee_mode 1
		.amdhsa_fp16_overflow 0
		.amdhsa_workgroup_processor_mode 1
		.amdhsa_memory_ordered 1
		.amdhsa_forward_progress 0
		.amdhsa_shared_vgpr_count 0
		.amdhsa_exception_fp_ieee_invalid_op 0
		.amdhsa_exception_fp_denorm_src 0
		.amdhsa_exception_fp_ieee_div_zero 0
		.amdhsa_exception_fp_ieee_overflow 0
		.amdhsa_exception_fp_ieee_underflow 0
		.amdhsa_exception_fp_ieee_inexact 0
		.amdhsa_exception_int_div_zero 0
	.end_amdhsa_kernel
	.section	.text._Z25warp_store_guarded_kernelILj1024ELj4ELj8ELN7rocprim17ROCPRIM_304000_NS17warp_store_methodE1EiEvPT3_S4_i,"axG",@progbits,_Z25warp_store_guarded_kernelILj1024ELj4ELj8ELN7rocprim17ROCPRIM_304000_NS17warp_store_methodE1EiEvPT3_S4_i,comdat
.Lfunc_end74:
	.size	_Z25warp_store_guarded_kernelILj1024ELj4ELj8ELN7rocprim17ROCPRIM_304000_NS17warp_store_methodE1EiEvPT3_S4_i, .Lfunc_end74-_Z25warp_store_guarded_kernelILj1024ELj4ELj8ELN7rocprim17ROCPRIM_304000_NS17warp_store_methodE1EiEvPT3_S4_i
                                        ; -- End function
	.section	.AMDGPU.csdata,"",@progbits
; Kernel info:
; codeLenInByte = 276
; NumSgprs: 10
; NumVgprs: 8
; ScratchSize: 0
; MemoryBound: 0
; FloatMode: 240
; IeeeMode: 1
; LDSByteSize: 0 bytes/workgroup (compile time only)
; SGPRBlocks: 1
; VGPRBlocks: 0
; NumSGPRsForWavesPerEU: 10
; NumVGPRsForWavesPerEU: 8
; Occupancy: 16
; WaveLimiterHint : 0
; COMPUTE_PGM_RSRC2:SCRATCH_EN: 0
; COMPUTE_PGM_RSRC2:USER_SGPR: 15
; COMPUTE_PGM_RSRC2:TRAP_HANDLER: 0
; COMPUTE_PGM_RSRC2:TGID_X_EN: 1
; COMPUTE_PGM_RSRC2:TGID_Y_EN: 0
; COMPUTE_PGM_RSRC2:TGID_Z_EN: 0
; COMPUTE_PGM_RSRC2:TIDIG_COMP_CNT: 0
	.section	.text._Z25warp_store_guarded_kernelILj1024ELj4ELj8ELN7rocprim17ROCPRIM_304000_NS17warp_store_methodE0EiEvPT3_S4_i,"axG",@progbits,_Z25warp_store_guarded_kernelILj1024ELj4ELj8ELN7rocprim17ROCPRIM_304000_NS17warp_store_methodE0EiEvPT3_S4_i,comdat
	.protected	_Z25warp_store_guarded_kernelILj1024ELj4ELj8ELN7rocprim17ROCPRIM_304000_NS17warp_store_methodE0EiEvPT3_S4_i ; -- Begin function _Z25warp_store_guarded_kernelILj1024ELj4ELj8ELN7rocprim17ROCPRIM_304000_NS17warp_store_methodE0EiEvPT3_S4_i
	.globl	_Z25warp_store_guarded_kernelILj1024ELj4ELj8ELN7rocprim17ROCPRIM_304000_NS17warp_store_methodE0EiEvPT3_S4_i
	.p2align	8
	.type	_Z25warp_store_guarded_kernelILj1024ELj4ELj8ELN7rocprim17ROCPRIM_304000_NS17warp_store_methodE0EiEvPT3_S4_i,@function
_Z25warp_store_guarded_kernelILj1024ELj4ELj8ELN7rocprim17ROCPRIM_304000_NS17warp_store_methodE0EiEvPT3_S4_i: ; @_Z25warp_store_guarded_kernelILj1024ELj4ELj8ELN7rocprim17ROCPRIM_304000_NS17warp_store_methodE0EiEvPT3_S4_i
; %bb.0:
	s_load_b128 s[4:7], s[0:1], 0x0
	v_lshlrev_b32_e32 v6, 4, v0
	v_mbcnt_lo_u32_b32 v3, -1, 0
	s_load_b32 s0, s[0:1], 0x10
	s_delay_alu instid0(VALU_DEP_1) | instskip(NEXT) | instid1(VALU_DEP_1)
	v_lshlrev_b32_e32 v3, 2, v3
	v_and_b32_e32 v5, 28, v3
	v_and_b32_e32 v3, 0x3f80, v6
	s_delay_alu instid0(VALU_DEP_2) | instskip(SKIP_3) | instid1(VALU_DEP_1)
	v_lshlrev_b32_e32 v4, 2, v5
	s_waitcnt lgkmcnt(0)
	global_load_b96 v[0:2], v6, s[4:5] offset:4
	v_add_co_u32 v3, s1, s6, v3
	v_add_co_ci_u32_e64 v7, null, s7, 0, s1
	s_mov_b32 s1, exec_lo
	s_delay_alu instid0(VALU_DEP_2) | instskip(NEXT) | instid1(VALU_DEP_2)
	v_add_co_u32 v3, vcc_lo, v3, v4
	v_add_co_ci_u32_e32 v4, vcc_lo, 0, v7, vcc_lo
	v_cmpx_gt_u32_e64 s0, v5
	s_cbranch_execz .LBB75_2
; %bb.1:
	v_add_co_u32 v6, s2, s4, v6
	s_delay_alu instid0(VALU_DEP_1)
	v_add_co_ci_u32_e64 v7, null, s5, 0, s2
	global_load_b32 v6, v[6:7], off
	s_waitcnt vmcnt(0)
	global_store_b32 v[3:4], v6, off
.LBB75_2:
	s_or_b32 exec_lo, exec_lo, s1
	v_or_b32_e32 v6, 1, v5
	s_mov_b32 s1, exec_lo
	s_delay_alu instid0(VALU_DEP_1)
	v_cmpx_gt_u32_e64 s0, v6
	s_cbranch_execz .LBB75_4
; %bb.3:
	s_waitcnt vmcnt(0)
	global_store_b32 v[3:4], v0, off offset:4
.LBB75_4:
	s_or_b32 exec_lo, exec_lo, s1
	s_waitcnt vmcnt(0)
	v_or_b32_e32 v0, 2, v5
	s_mov_b32 s1, exec_lo
	s_delay_alu instid0(VALU_DEP_1)
	v_cmpx_gt_u32_e64 s0, v0
	s_cbranch_execz .LBB75_6
; %bb.5:
	global_store_b32 v[3:4], v1, off offset:8
.LBB75_6:
	s_or_b32 exec_lo, exec_lo, s1
	v_or_b32_e32 v0, 3, v5
	s_delay_alu instid0(VALU_DEP_1)
	v_cmp_gt_u32_e32 vcc_lo, s0, v0
	s_and_saveexec_b32 s0, vcc_lo
	s_cbranch_execz .LBB75_8
; %bb.7:
	global_store_b32 v[3:4], v2, off offset:12
.LBB75_8:
	s_nop 0
	s_sendmsg sendmsg(MSG_DEALLOC_VGPRS)
	s_endpgm
	.section	.rodata,"a",@progbits
	.p2align	6, 0x0
	.amdhsa_kernel _Z25warp_store_guarded_kernelILj1024ELj4ELj8ELN7rocprim17ROCPRIM_304000_NS17warp_store_methodE0EiEvPT3_S4_i
		.amdhsa_group_segment_fixed_size 0
		.amdhsa_private_segment_fixed_size 0
		.amdhsa_kernarg_size 20
		.amdhsa_user_sgpr_count 15
		.amdhsa_user_sgpr_dispatch_ptr 0
		.amdhsa_user_sgpr_queue_ptr 0
		.amdhsa_user_sgpr_kernarg_segment_ptr 1
		.amdhsa_user_sgpr_dispatch_id 0
		.amdhsa_user_sgpr_private_segment_size 0
		.amdhsa_wavefront_size32 1
		.amdhsa_uses_dynamic_stack 0
		.amdhsa_enable_private_segment 0
		.amdhsa_system_sgpr_workgroup_id_x 1
		.amdhsa_system_sgpr_workgroup_id_y 0
		.amdhsa_system_sgpr_workgroup_id_z 0
		.amdhsa_system_sgpr_workgroup_info 0
		.amdhsa_system_vgpr_workitem_id 0
		.amdhsa_next_free_vgpr 8
		.amdhsa_next_free_sgpr 8
		.amdhsa_reserve_vcc 1
		.amdhsa_float_round_mode_32 0
		.amdhsa_float_round_mode_16_64 0
		.amdhsa_float_denorm_mode_32 3
		.amdhsa_float_denorm_mode_16_64 3
		.amdhsa_dx10_clamp 1
		.amdhsa_ieee_mode 1
		.amdhsa_fp16_overflow 0
		.amdhsa_workgroup_processor_mode 1
		.amdhsa_memory_ordered 1
		.amdhsa_forward_progress 0
		.amdhsa_shared_vgpr_count 0
		.amdhsa_exception_fp_ieee_invalid_op 0
		.amdhsa_exception_fp_denorm_src 0
		.amdhsa_exception_fp_ieee_div_zero 0
		.amdhsa_exception_fp_ieee_overflow 0
		.amdhsa_exception_fp_ieee_underflow 0
		.amdhsa_exception_fp_ieee_inexact 0
		.amdhsa_exception_int_div_zero 0
	.end_amdhsa_kernel
	.section	.text._Z25warp_store_guarded_kernelILj1024ELj4ELj8ELN7rocprim17ROCPRIM_304000_NS17warp_store_methodE0EiEvPT3_S4_i,"axG",@progbits,_Z25warp_store_guarded_kernelILj1024ELj4ELj8ELN7rocprim17ROCPRIM_304000_NS17warp_store_methodE0EiEvPT3_S4_i,comdat
.Lfunc_end75:
	.size	_Z25warp_store_guarded_kernelILj1024ELj4ELj8ELN7rocprim17ROCPRIM_304000_NS17warp_store_methodE0EiEvPT3_S4_i, .Lfunc_end75-_Z25warp_store_guarded_kernelILj1024ELj4ELj8ELN7rocprim17ROCPRIM_304000_NS17warp_store_methodE0EiEvPT3_S4_i
                                        ; -- End function
	.section	.AMDGPU.csdata,"",@progbits
; Kernel info:
; codeLenInByte = 280
; NumSgprs: 10
; NumVgprs: 8
; ScratchSize: 0
; MemoryBound: 0
; FloatMode: 240
; IeeeMode: 1
; LDSByteSize: 0 bytes/workgroup (compile time only)
; SGPRBlocks: 1
; VGPRBlocks: 0
; NumSGPRsForWavesPerEU: 10
; NumVGPRsForWavesPerEU: 8
; Occupancy: 16
; WaveLimiterHint : 0
; COMPUTE_PGM_RSRC2:SCRATCH_EN: 0
; COMPUTE_PGM_RSRC2:USER_SGPR: 15
; COMPUTE_PGM_RSRC2:TRAP_HANDLER: 0
; COMPUTE_PGM_RSRC2:TGID_X_EN: 1
; COMPUTE_PGM_RSRC2:TGID_Y_EN: 0
; COMPUTE_PGM_RSRC2:TGID_Z_EN: 0
; COMPUTE_PGM_RSRC2:TIDIG_COMP_CNT: 0
	.text
	.p2alignl 7, 3214868480
	.fill 96, 4, 3214868480
	.type	__hip_cuid_d56da2615d5045dc,@object ; @__hip_cuid_d56da2615d5045dc
	.section	.bss,"aw",@nobits
	.globl	__hip_cuid_d56da2615d5045dc
__hip_cuid_d56da2615d5045dc:
	.byte	0                               ; 0x0
	.size	__hip_cuid_d56da2615d5045dc, 1

	.ident	"AMD clang version 19.0.0git (https://github.com/RadeonOpenCompute/llvm-project roc-6.4.0 25133 c7fe45cf4b819c5991fe208aaa96edf142730f1d)"
	.section	".note.GNU-stack","",@progbits
	.addrsig
	.addrsig_sym __hip_cuid_d56da2615d5045dc
	.amdgpu_metadata
---
amdhsa.kernels:
  - .args:
      - .address_space:  global
        .offset:         0
        .size:           8
        .value_kind:     global_buffer
      - .address_space:  global
        .offset:         8
        .size:           8
        .value_kind:     global_buffer
    .group_segment_fixed_size: 8192
    .kernarg_segment_align: 8
    .kernarg_segment_size: 16
    .language:       OpenCL C
    .language_version:
      - 2
      - 0
    .max_flat_workgroup_size: 1024
    .name:           _Z17warp_store_kernelILj1024ELj4ELj1ELN7rocprim17ROCPRIM_304000_NS17warp_store_methodE3E12hip_bfloat16EvPT3_S5_
    .private_segment_fixed_size: 0
    .sgpr_count:     4
    .sgpr_spill_count: 0
    .symbol:         _Z17warp_store_kernelILj1024ELj4ELj1ELN7rocprim17ROCPRIM_304000_NS17warp_store_methodE3E12hip_bfloat16EvPT3_S5_.kd
    .uniform_work_group_size: 1
    .uses_dynamic_stack: false
    .vgpr_count:     3
    .vgpr_spill_count: 0
    .wavefront_size: 32
    .workgroup_processor_mode: 1
  - .args:
      - .address_space:  global
        .offset:         0
        .size:           8
        .value_kind:     global_buffer
      - .address_space:  global
        .offset:         8
        .size:           8
        .value_kind:     global_buffer
    .group_segment_fixed_size: 0
    .kernarg_segment_align: 8
    .kernarg_segment_size: 16
    .language:       OpenCL C
    .language_version:
      - 2
      - 0
    .max_flat_workgroup_size: 1024
    .name:           _Z17warp_store_kernelILj1024ELj4ELj1ELN7rocprim17ROCPRIM_304000_NS17warp_store_methodE2E12hip_bfloat16EvPT3_S5_
    .private_segment_fixed_size: 0
    .sgpr_count:     4
    .sgpr_spill_count: 0
    .symbol:         _Z17warp_store_kernelILj1024ELj4ELj1ELN7rocprim17ROCPRIM_304000_NS17warp_store_methodE2E12hip_bfloat16EvPT3_S5_.kd
    .uniform_work_group_size: 1
    .uses_dynamic_stack: false
    .vgpr_count:     4
    .vgpr_spill_count: 0
    .wavefront_size: 32
    .workgroup_processor_mode: 1
  - .args:
      - .address_space:  global
        .offset:         0
        .size:           8
        .value_kind:     global_buffer
      - .address_space:  global
        .offset:         8
        .size:           8
        .value_kind:     global_buffer
    .group_segment_fixed_size: 0
    .kernarg_segment_align: 8
    .kernarg_segment_size: 16
    .language:       OpenCL C
    .language_version:
      - 2
      - 0
    .max_flat_workgroup_size: 1024
    .name:           _Z17warp_store_kernelILj1024ELj4ELj1ELN7rocprim17ROCPRIM_304000_NS17warp_store_methodE1E12hip_bfloat16EvPT3_S5_
    .private_segment_fixed_size: 0
    .sgpr_count:     4
    .sgpr_spill_count: 0
    .symbol:         _Z17warp_store_kernelILj1024ELj4ELj1ELN7rocprim17ROCPRIM_304000_NS17warp_store_methodE1E12hip_bfloat16EvPT3_S5_.kd
    .uniform_work_group_size: 1
    .uses_dynamic_stack: false
    .vgpr_count:     3
    .vgpr_spill_count: 0
    .wavefront_size: 32
    .workgroup_processor_mode: 1
  - .args:
      - .address_space:  global
        .offset:         0
        .size:           8
        .value_kind:     global_buffer
      - .address_space:  global
        .offset:         8
        .size:           8
        .value_kind:     global_buffer
    .group_segment_fixed_size: 0
    .kernarg_segment_align: 8
    .kernarg_segment_size: 16
    .language:       OpenCL C
    .language_version:
      - 2
      - 0
    .max_flat_workgroup_size: 1024
    .name:           _Z17warp_store_kernelILj1024ELj4ELj1ELN7rocprim17ROCPRIM_304000_NS17warp_store_methodE0E12hip_bfloat16EvPT3_S5_
    .private_segment_fixed_size: 0
    .sgpr_count:     4
    .sgpr_spill_count: 0
    .symbol:         _Z17warp_store_kernelILj1024ELj4ELj1ELN7rocprim17ROCPRIM_304000_NS17warp_store_methodE0E12hip_bfloat16EvPT3_S5_.kd
    .uniform_work_group_size: 1
    .uses_dynamic_stack: false
    .vgpr_count:     3
    .vgpr_spill_count: 0
    .wavefront_size: 32
    .workgroup_processor_mode: 1
  - .args:
      - .address_space:  global
        .offset:         0
        .size:           8
        .value_kind:     global_buffer
      - .address_space:  global
        .offset:         8
        .size:           8
        .value_kind:     global_buffer
    .group_segment_fixed_size: 32768
    .kernarg_segment_align: 8
    .kernarg_segment_size: 16
    .language:       OpenCL C
    .language_version:
      - 2
      - 0
    .max_flat_workgroup_size: 1024
    .name:           _Z17warp_store_kernelILj1024ELj4ELj1ELN7rocprim17ROCPRIM_304000_NS17warp_store_methodE3EdEvPT3_S4_
    .private_segment_fixed_size: 0
    .sgpr_count:     4
    .sgpr_spill_count: 0
    .symbol:         _Z17warp_store_kernelILj1024ELj4ELj1ELN7rocprim17ROCPRIM_304000_NS17warp_store_methodE3EdEvPT3_S4_.kd
    .uniform_work_group_size: 1
    .uses_dynamic_stack: false
    .vgpr_count:     9
    .vgpr_spill_count: 0
    .wavefront_size: 32
    .workgroup_processor_mode: 1
  - .args:
      - .address_space:  global
        .offset:         0
        .size:           8
        .value_kind:     global_buffer
      - .address_space:  global
        .offset:         8
        .size:           8
        .value_kind:     global_buffer
    .group_segment_fixed_size: 0
    .kernarg_segment_align: 8
    .kernarg_segment_size: 16
    .language:       OpenCL C
    .language_version:
      - 2
      - 0
    .max_flat_workgroup_size: 1024
    .name:           _Z17warp_store_kernelILj1024ELj4ELj1ELN7rocprim17ROCPRIM_304000_NS17warp_store_methodE2EdEvPT3_S4_
    .private_segment_fixed_size: 0
    .sgpr_count:     4
    .sgpr_spill_count: 0
    .symbol:         _Z17warp_store_kernelILj1024ELj4ELj1ELN7rocprim17ROCPRIM_304000_NS17warp_store_methodE2EdEvPT3_S4_.kd
    .uniform_work_group_size: 1
    .uses_dynamic_stack: false
    .vgpr_count:     9
    .vgpr_spill_count: 0
    .wavefront_size: 32
    .workgroup_processor_mode: 1
  - .args:
      - .address_space:  global
        .offset:         0
        .size:           8
        .value_kind:     global_buffer
      - .address_space:  global
        .offset:         8
        .size:           8
        .value_kind:     global_buffer
    .group_segment_fixed_size: 0
    .kernarg_segment_align: 8
    .kernarg_segment_size: 16
    .language:       OpenCL C
    .language_version:
      - 2
      - 0
    .max_flat_workgroup_size: 1024
    .name:           _Z17warp_store_kernelILj1024ELj4ELj1ELN7rocprim17ROCPRIM_304000_NS17warp_store_methodE1EdEvPT3_S4_
    .private_segment_fixed_size: 0
    .sgpr_count:     4
    .sgpr_spill_count: 0
    .symbol:         _Z17warp_store_kernelILj1024ELj4ELj1ELN7rocprim17ROCPRIM_304000_NS17warp_store_methodE1EdEvPT3_S4_.kd
    .uniform_work_group_size: 1
    .uses_dynamic_stack: false
    .vgpr_count:     9
    .vgpr_spill_count: 0
    .wavefront_size: 32
    .workgroup_processor_mode: 1
  - .args:
      - .address_space:  global
        .offset:         0
        .size:           8
        .value_kind:     global_buffer
      - .address_space:  global
        .offset:         8
        .size:           8
        .value_kind:     global_buffer
    .group_segment_fixed_size: 0
    .kernarg_segment_align: 8
    .kernarg_segment_size: 16
    .language:       OpenCL C
    .language_version:
      - 2
      - 0
    .max_flat_workgroup_size: 1024
    .name:           _Z17warp_store_kernelILj1024ELj4ELj1ELN7rocprim17ROCPRIM_304000_NS17warp_store_methodE0EdEvPT3_S4_
    .private_segment_fixed_size: 0
    .sgpr_count:     4
    .sgpr_spill_count: 0
    .symbol:         _Z17warp_store_kernelILj1024ELj4ELj1ELN7rocprim17ROCPRIM_304000_NS17warp_store_methodE0EdEvPT3_S4_.kd
    .uniform_work_group_size: 1
    .uses_dynamic_stack: false
    .vgpr_count:     9
    .vgpr_spill_count: 0
    .wavefront_size: 32
    .workgroup_processor_mode: 1
  - .args:
      - .address_space:  global
        .offset:         0
        .size:           8
        .value_kind:     global_buffer
      - .address_space:  global
        .offset:         8
        .size:           8
        .value_kind:     global_buffer
    .group_segment_fixed_size: 16384
    .kernarg_segment_align: 8
    .kernarg_segment_size: 16
    .language:       OpenCL C
    .language_version:
      - 2
      - 0
    .max_flat_workgroup_size: 1024
    .name:           _Z17warp_store_kernelILj1024ELj4ELj1ELN7rocprim17ROCPRIM_304000_NS17warp_store_methodE3EfEvPT3_S4_
    .private_segment_fixed_size: 0
    .sgpr_count:     4
    .sgpr_spill_count: 0
    .symbol:         _Z17warp_store_kernelILj1024ELj4ELj1ELN7rocprim17ROCPRIM_304000_NS17warp_store_methodE3EfEvPT3_S4_.kd
    .uniform_work_group_size: 1
    .uses_dynamic_stack: false
    .vgpr_count:     5
    .vgpr_spill_count: 0
    .wavefront_size: 32
    .workgroup_processor_mode: 1
  - .args:
      - .address_space:  global
        .offset:         0
        .size:           8
        .value_kind:     global_buffer
      - .address_space:  global
        .offset:         8
        .size:           8
        .value_kind:     global_buffer
    .group_segment_fixed_size: 0
    .kernarg_segment_align: 8
    .kernarg_segment_size: 16
    .language:       OpenCL C
    .language_version:
      - 2
      - 0
    .max_flat_workgroup_size: 1024
    .name:           _Z17warp_store_kernelILj1024ELj4ELj1ELN7rocprim17ROCPRIM_304000_NS17warp_store_methodE2EfEvPT3_S4_
    .private_segment_fixed_size: 0
    .sgpr_count:     4
    .sgpr_spill_count: 0
    .symbol:         _Z17warp_store_kernelILj1024ELj4ELj1ELN7rocprim17ROCPRIM_304000_NS17warp_store_methodE2EfEvPT3_S4_.kd
    .uniform_work_group_size: 1
    .uses_dynamic_stack: false
    .vgpr_count:     5
    .vgpr_spill_count: 0
    .wavefront_size: 32
    .workgroup_processor_mode: 1
  - .args:
      - .address_space:  global
        .offset:         0
        .size:           8
        .value_kind:     global_buffer
      - .address_space:  global
        .offset:         8
        .size:           8
        .value_kind:     global_buffer
    .group_segment_fixed_size: 0
    .kernarg_segment_align: 8
    .kernarg_segment_size: 16
    .language:       OpenCL C
    .language_version:
      - 2
      - 0
    .max_flat_workgroup_size: 1024
    .name:           _Z17warp_store_kernelILj1024ELj4ELj1ELN7rocprim17ROCPRIM_304000_NS17warp_store_methodE1EfEvPT3_S4_
    .private_segment_fixed_size: 0
    .sgpr_count:     4
    .sgpr_spill_count: 0
    .symbol:         _Z17warp_store_kernelILj1024ELj4ELj1ELN7rocprim17ROCPRIM_304000_NS17warp_store_methodE1EfEvPT3_S4_.kd
    .uniform_work_group_size: 1
    .uses_dynamic_stack: false
    .vgpr_count:     5
    .vgpr_spill_count: 0
    .wavefront_size: 32
    .workgroup_processor_mode: 1
  - .args:
      - .address_space:  global
        .offset:         0
        .size:           8
        .value_kind:     global_buffer
      - .address_space:  global
        .offset:         8
        .size:           8
        .value_kind:     global_buffer
    .group_segment_fixed_size: 0
    .kernarg_segment_align: 8
    .kernarg_segment_size: 16
    .language:       OpenCL C
    .language_version:
      - 2
      - 0
    .max_flat_workgroup_size: 1024
    .name:           _Z17warp_store_kernelILj1024ELj4ELj1ELN7rocprim17ROCPRIM_304000_NS17warp_store_methodE0EfEvPT3_S4_
    .private_segment_fixed_size: 0
    .sgpr_count:     4
    .sgpr_spill_count: 0
    .symbol:         _Z17warp_store_kernelILj1024ELj4ELj1ELN7rocprim17ROCPRIM_304000_NS17warp_store_methodE0EfEvPT3_S4_.kd
    .uniform_work_group_size: 1
    .uses_dynamic_stack: false
    .vgpr_count:     5
    .vgpr_spill_count: 0
    .wavefront_size: 32
    .workgroup_processor_mode: 1
  - .args:
      - .address_space:  global
        .offset:         0
        .size:           8
        .value_kind:     global_buffer
      - .address_space:  global
        .offset:         8
        .size:           8
        .value_kind:     global_buffer
    .group_segment_fixed_size: 4096
    .kernarg_segment_align: 8
    .kernarg_segment_size: 16
    .language:       OpenCL C
    .language_version:
      - 2
      - 0
    .max_flat_workgroup_size: 1024
    .name:           _Z17warp_store_kernelILj1024ELj4ELj1ELN7rocprim17ROCPRIM_304000_NS17warp_store_methodE3EhEvPT3_S4_
    .private_segment_fixed_size: 0
    .sgpr_count:     4
    .sgpr_spill_count: 0
    .symbol:         _Z17warp_store_kernelILj1024ELj4ELj1ELN7rocprim17ROCPRIM_304000_NS17warp_store_methodE3EhEvPT3_S4_.kd
    .uniform_work_group_size: 1
    .uses_dynamic_stack: false
    .vgpr_count:     2
    .vgpr_spill_count: 0
    .wavefront_size: 32
    .workgroup_processor_mode: 1
  - .args:
      - .address_space:  global
        .offset:         0
        .size:           8
        .value_kind:     global_buffer
      - .address_space:  global
        .offset:         8
        .size:           8
        .value_kind:     global_buffer
    .group_segment_fixed_size: 0
    .kernarg_segment_align: 8
    .kernarg_segment_size: 16
    .language:       OpenCL C
    .language_version:
      - 2
      - 0
    .max_flat_workgroup_size: 1024
    .name:           _Z17warp_store_kernelILj1024ELj4ELj1ELN7rocprim17ROCPRIM_304000_NS17warp_store_methodE2EhEvPT3_S4_
    .private_segment_fixed_size: 0
    .sgpr_count:     4
    .sgpr_spill_count: 0
    .symbol:         _Z17warp_store_kernelILj1024ELj4ELj1ELN7rocprim17ROCPRIM_304000_NS17warp_store_methodE2EhEvPT3_S4_.kd
    .uniform_work_group_size: 1
    .uses_dynamic_stack: false
    .vgpr_count:     2
    .vgpr_spill_count: 0
    .wavefront_size: 32
    .workgroup_processor_mode: 1
  - .args:
      - .address_space:  global
        .offset:         0
        .size:           8
        .value_kind:     global_buffer
      - .address_space:  global
        .offset:         8
        .size:           8
        .value_kind:     global_buffer
    .group_segment_fixed_size: 0
    .kernarg_segment_align: 8
    .kernarg_segment_size: 16
    .language:       OpenCL C
    .language_version:
      - 2
      - 0
    .max_flat_workgroup_size: 1024
    .name:           _Z17warp_store_kernelILj1024ELj4ELj1ELN7rocprim17ROCPRIM_304000_NS17warp_store_methodE1EhEvPT3_S4_
    .private_segment_fixed_size: 0
    .sgpr_count:     4
    .sgpr_spill_count: 0
    .symbol:         _Z17warp_store_kernelILj1024ELj4ELj1ELN7rocprim17ROCPRIM_304000_NS17warp_store_methodE1EhEvPT3_S4_.kd
    .uniform_work_group_size: 1
    .uses_dynamic_stack: false
    .vgpr_count:     2
    .vgpr_spill_count: 0
    .wavefront_size: 32
    .workgroup_processor_mode: 1
  - .args:
      - .address_space:  global
        .offset:         0
        .size:           8
        .value_kind:     global_buffer
      - .address_space:  global
        .offset:         8
        .size:           8
        .value_kind:     global_buffer
    .group_segment_fixed_size: 0
    .kernarg_segment_align: 8
    .kernarg_segment_size: 16
    .language:       OpenCL C
    .language_version:
      - 2
      - 0
    .max_flat_workgroup_size: 1024
    .name:           _Z17warp_store_kernelILj1024ELj4ELj1ELN7rocprim17ROCPRIM_304000_NS17warp_store_methodE0EhEvPT3_S4_
    .private_segment_fixed_size: 0
    .sgpr_count:     4
    .sgpr_spill_count: 0
    .symbol:         _Z17warp_store_kernelILj1024ELj4ELj1ELN7rocprim17ROCPRIM_304000_NS17warp_store_methodE0EhEvPT3_S4_.kd
    .uniform_work_group_size: 1
    .uses_dynamic_stack: false
    .vgpr_count:     2
    .vgpr_spill_count: 0
    .wavefront_size: 32
    .workgroup_processor_mode: 1
  - .args:
      - .address_space:  global
        .offset:         0
        .size:           8
        .value_kind:     global_buffer
      - .address_space:  global
        .offset:         8
        .size:           8
        .value_kind:     global_buffer
    .group_segment_fixed_size: 4096
    .kernarg_segment_align: 8
    .kernarg_segment_size: 16
    .language:       OpenCL C
    .language_version:
      - 2
      - 0
    .max_flat_workgroup_size: 1024
    .name:           _Z17warp_store_kernelILj1024ELj4ELj1ELN7rocprim17ROCPRIM_304000_NS17warp_store_methodE3EaEvPT3_S4_
    .private_segment_fixed_size: 0
    .sgpr_count:     4
    .sgpr_spill_count: 0
    .symbol:         _Z17warp_store_kernelILj1024ELj4ELj1ELN7rocprim17ROCPRIM_304000_NS17warp_store_methodE3EaEvPT3_S4_.kd
    .uniform_work_group_size: 1
    .uses_dynamic_stack: false
    .vgpr_count:     2
    .vgpr_spill_count: 0
    .wavefront_size: 32
    .workgroup_processor_mode: 1
  - .args:
      - .address_space:  global
        .offset:         0
        .size:           8
        .value_kind:     global_buffer
      - .address_space:  global
        .offset:         8
        .size:           8
        .value_kind:     global_buffer
    .group_segment_fixed_size: 0
    .kernarg_segment_align: 8
    .kernarg_segment_size: 16
    .language:       OpenCL C
    .language_version:
      - 2
      - 0
    .max_flat_workgroup_size: 1024
    .name:           _Z17warp_store_kernelILj1024ELj4ELj1ELN7rocprim17ROCPRIM_304000_NS17warp_store_methodE2EaEvPT3_S4_
    .private_segment_fixed_size: 0
    .sgpr_count:     4
    .sgpr_spill_count: 0
    .symbol:         _Z17warp_store_kernelILj1024ELj4ELj1ELN7rocprim17ROCPRIM_304000_NS17warp_store_methodE2EaEvPT3_S4_.kd
    .uniform_work_group_size: 1
    .uses_dynamic_stack: false
    .vgpr_count:     2
    .vgpr_spill_count: 0
    .wavefront_size: 32
    .workgroup_processor_mode: 1
  - .args:
      - .address_space:  global
        .offset:         0
        .size:           8
        .value_kind:     global_buffer
      - .address_space:  global
        .offset:         8
        .size:           8
        .value_kind:     global_buffer
    .group_segment_fixed_size: 0
    .kernarg_segment_align: 8
    .kernarg_segment_size: 16
    .language:       OpenCL C
    .language_version:
      - 2
      - 0
    .max_flat_workgroup_size: 1024
    .name:           _Z17warp_store_kernelILj1024ELj4ELj1ELN7rocprim17ROCPRIM_304000_NS17warp_store_methodE1EaEvPT3_S4_
    .private_segment_fixed_size: 0
    .sgpr_count:     4
    .sgpr_spill_count: 0
    .symbol:         _Z17warp_store_kernelILj1024ELj4ELj1ELN7rocprim17ROCPRIM_304000_NS17warp_store_methodE1EaEvPT3_S4_.kd
    .uniform_work_group_size: 1
    .uses_dynamic_stack: false
    .vgpr_count:     2
    .vgpr_spill_count: 0
    .wavefront_size: 32
    .workgroup_processor_mode: 1
  - .args:
      - .address_space:  global
        .offset:         0
        .size:           8
        .value_kind:     global_buffer
      - .address_space:  global
        .offset:         8
        .size:           8
        .value_kind:     global_buffer
    .group_segment_fixed_size: 0
    .kernarg_segment_align: 8
    .kernarg_segment_size: 16
    .language:       OpenCL C
    .language_version:
      - 2
      - 0
    .max_flat_workgroup_size: 1024
    .name:           _Z17warp_store_kernelILj1024ELj4ELj1ELN7rocprim17ROCPRIM_304000_NS17warp_store_methodE0EaEvPT3_S4_
    .private_segment_fixed_size: 0
    .sgpr_count:     4
    .sgpr_spill_count: 0
    .symbol:         _Z17warp_store_kernelILj1024ELj4ELj1ELN7rocprim17ROCPRIM_304000_NS17warp_store_methodE0EaEvPT3_S4_.kd
    .uniform_work_group_size: 1
    .uses_dynamic_stack: false
    .vgpr_count:     2
    .vgpr_spill_count: 0
    .wavefront_size: 32
    .workgroup_processor_mode: 1
  - .args:
      - .address_space:  global
        .offset:         0
        .size:           8
        .value_kind:     global_buffer
      - .address_space:  global
        .offset:         8
        .size:           8
        .value_kind:     global_buffer
    .group_segment_fixed_size: 32768
    .kernarg_segment_align: 8
    .kernarg_segment_size: 16
    .language:       OpenCL C
    .language_version:
      - 2
      - 0
    .max_flat_workgroup_size: 1024
    .name:           _Z17warp_store_kernelILj1024ELj4ELj32ELN7rocprim17ROCPRIM_304000_NS17warp_store_methodE3E15HIP_vector_typeIfLj2EEEvPT3_S6_
    .private_segment_fixed_size: 0
    .sgpr_count:     6
    .sgpr_spill_count: 0
    .symbol:         _Z17warp_store_kernelILj1024ELj4ELj32ELN7rocprim17ROCPRIM_304000_NS17warp_store_methodE3E15HIP_vector_typeIfLj2EEEvPT3_S6_.kd
    .uniform_work_group_size: 1
    .uses_dynamic_stack: false
    .vgpr_count:     12
    .vgpr_spill_count: 0
    .wavefront_size: 32
    .workgroup_processor_mode: 1
  - .args:
      - .address_space:  global
        .offset:         0
        .size:           8
        .value_kind:     global_buffer
      - .address_space:  global
        .offset:         8
        .size:           8
        .value_kind:     global_buffer
    .group_segment_fixed_size: 0
    .kernarg_segment_align: 8
    .kernarg_segment_size: 16
    .language:       OpenCL C
    .language_version:
      - 2
      - 0
    .max_flat_workgroup_size: 1024
    .name:           _Z17warp_store_kernelILj1024ELj4ELj32ELN7rocprim17ROCPRIM_304000_NS17warp_store_methodE2E15HIP_vector_typeIfLj2EEEvPT3_S6_
    .private_segment_fixed_size: 0
    .sgpr_count:     6
    .sgpr_spill_count: 0
    .symbol:         _Z17warp_store_kernelILj1024ELj4ELj32ELN7rocprim17ROCPRIM_304000_NS17warp_store_methodE2E15HIP_vector_typeIfLj2EEEvPT3_S6_.kd
    .uniform_work_group_size: 1
    .uses_dynamic_stack: false
    .vgpr_count:     11
    .vgpr_spill_count: 0
    .wavefront_size: 32
    .workgroup_processor_mode: 1
  - .args:
      - .address_space:  global
        .offset:         0
        .size:           8
        .value_kind:     global_buffer
      - .address_space:  global
        .offset:         8
        .size:           8
        .value_kind:     global_buffer
    .group_segment_fixed_size: 0
    .kernarg_segment_align: 8
    .kernarg_segment_size: 16
    .language:       OpenCL C
    .language_version:
      - 2
      - 0
    .max_flat_workgroup_size: 1024
    .name:           _Z17warp_store_kernelILj1024ELj4ELj32ELN7rocprim17ROCPRIM_304000_NS17warp_store_methodE1E15HIP_vector_typeIfLj2EEEvPT3_S6_
    .private_segment_fixed_size: 0
    .sgpr_count:     6
    .sgpr_spill_count: 0
    .symbol:         _Z17warp_store_kernelILj1024ELj4ELj32ELN7rocprim17ROCPRIM_304000_NS17warp_store_methodE1E15HIP_vector_typeIfLj2EEEvPT3_S6_.kd
    .uniform_work_group_size: 1
    .uses_dynamic_stack: false
    .vgpr_count:     11
    .vgpr_spill_count: 0
    .wavefront_size: 32
    .workgroup_processor_mode: 1
  - .args:
      - .address_space:  global
        .offset:         0
        .size:           8
        .value_kind:     global_buffer
      - .address_space:  global
        .offset:         8
        .size:           8
        .value_kind:     global_buffer
    .group_segment_fixed_size: 0
    .kernarg_segment_align: 8
    .kernarg_segment_size: 16
    .language:       OpenCL C
    .language_version:
      - 2
      - 0
    .max_flat_workgroup_size: 1024
    .name:           _Z17warp_store_kernelILj1024ELj4ELj32ELN7rocprim17ROCPRIM_304000_NS17warp_store_methodE0E15HIP_vector_typeIfLj2EEEvPT3_S6_
    .private_segment_fixed_size: 0
    .sgpr_count:     6
    .sgpr_spill_count: 0
    .symbol:         _Z17warp_store_kernelILj1024ELj4ELj32ELN7rocprim17ROCPRIM_304000_NS17warp_store_methodE0E15HIP_vector_typeIfLj2EEEvPT3_S6_.kd
    .uniform_work_group_size: 1
    .uses_dynamic_stack: false
    .vgpr_count:     11
    .vgpr_spill_count: 0
    .wavefront_size: 32
    .workgroup_processor_mode: 1
  - .args:
      - .address_space:  global
        .offset:         0
        .size:           8
        .value_kind:     global_buffer
      - .address_space:  global
        .offset:         8
        .size:           8
        .value_kind:     global_buffer
    .group_segment_fixed_size: 0
    .kernarg_segment_align: 8
    .kernarg_segment_size: 16
    .language:       OpenCL C
    .language_version:
      - 2
      - 0
    .max_flat_workgroup_size: 1024
    .name:           _Z17warp_store_kernelILj1024ELj4ELj64ELN7rocprim17ROCPRIM_304000_NS17warp_store_methodE3EiEvPT3_S4_
    .private_segment_fixed_size: 0
    .sgpr_count:     0
    .sgpr_spill_count: 0
    .symbol:         _Z17warp_store_kernelILj1024ELj4ELj64ELN7rocprim17ROCPRIM_304000_NS17warp_store_methodE3EiEvPT3_S4_.kd
    .uniform_work_group_size: 1
    .uses_dynamic_stack: false
    .vgpr_count:     0
    .vgpr_spill_count: 0
    .wavefront_size: 32
    .workgroup_processor_mode: 1
  - .args:
      - .address_space:  global
        .offset:         0
        .size:           8
        .value_kind:     global_buffer
      - .address_space:  global
        .offset:         8
        .size:           8
        .value_kind:     global_buffer
    .group_segment_fixed_size: 0
    .kernarg_segment_align: 8
    .kernarg_segment_size: 16
    .language:       OpenCL C
    .language_version:
      - 2
      - 0
    .max_flat_workgroup_size: 1024
    .name:           _Z17warp_store_kernelILj1024ELj4ELj64ELN7rocprim17ROCPRIM_304000_NS17warp_store_methodE2EiEvPT3_S4_
    .private_segment_fixed_size: 0
    .sgpr_count:     0
    .sgpr_spill_count: 0
    .symbol:         _Z17warp_store_kernelILj1024ELj4ELj64ELN7rocprim17ROCPRIM_304000_NS17warp_store_methodE2EiEvPT3_S4_.kd
    .uniform_work_group_size: 1
    .uses_dynamic_stack: false
    .vgpr_count:     0
    .vgpr_spill_count: 0
    .wavefront_size: 32
    .workgroup_processor_mode: 1
  - .args:
      - .address_space:  global
        .offset:         0
        .size:           8
        .value_kind:     global_buffer
      - .address_space:  global
        .offset:         8
        .size:           8
        .value_kind:     global_buffer
    .group_segment_fixed_size: 0
    .kernarg_segment_align: 8
    .kernarg_segment_size: 16
    .language:       OpenCL C
    .language_version:
      - 2
      - 0
    .max_flat_workgroup_size: 1024
    .name:           _Z17warp_store_kernelILj1024ELj4ELj64ELN7rocprim17ROCPRIM_304000_NS17warp_store_methodE1EiEvPT3_S4_
    .private_segment_fixed_size: 0
    .sgpr_count:     0
    .sgpr_spill_count: 0
    .symbol:         _Z17warp_store_kernelILj1024ELj4ELj64ELN7rocprim17ROCPRIM_304000_NS17warp_store_methodE1EiEvPT3_S4_.kd
    .uniform_work_group_size: 1
    .uses_dynamic_stack: false
    .vgpr_count:     0
    .vgpr_spill_count: 0
    .wavefront_size: 32
    .workgroup_processor_mode: 1
  - .args:
      - .address_space:  global
        .offset:         0
        .size:           8
        .value_kind:     global_buffer
      - .address_space:  global
        .offset:         8
        .size:           8
        .value_kind:     global_buffer
    .group_segment_fixed_size: 0
    .kernarg_segment_align: 8
    .kernarg_segment_size: 16
    .language:       OpenCL C
    .language_version:
      - 2
      - 0
    .max_flat_workgroup_size: 1024
    .name:           _Z17warp_store_kernelILj1024ELj4ELj64ELN7rocprim17ROCPRIM_304000_NS17warp_store_methodE0EiEvPT3_S4_
    .private_segment_fixed_size: 0
    .sgpr_count:     0
    .sgpr_spill_count: 0
    .symbol:         _Z17warp_store_kernelILj1024ELj4ELj64ELN7rocprim17ROCPRIM_304000_NS17warp_store_methodE0EiEvPT3_S4_.kd
    .uniform_work_group_size: 1
    .uses_dynamic_stack: false
    .vgpr_count:     0
    .vgpr_spill_count: 0
    .wavefront_size: 32
    .workgroup_processor_mode: 1
  - .args:
      - .address_space:  global
        .offset:         0
        .size:           8
        .value_kind:     global_buffer
      - .address_space:  global
        .offset:         8
        .size:           8
        .value_kind:     global_buffer
    .group_segment_fixed_size: 20480
    .kernarg_segment_align: 8
    .kernarg_segment_size: 16
    .language:       OpenCL C
    .language_version:
      - 2
      - 0
    .max_flat_workgroup_size: 1024
    .name:           _Z17warp_store_kernelILj1024ELj5ELj32ELN7rocprim17ROCPRIM_304000_NS17warp_store_methodE3EiEvPT3_S4_
    .private_segment_fixed_size: 0
    .sgpr_count:     6
    .sgpr_spill_count: 0
    .symbol:         _Z17warp_store_kernelILj1024ELj5ELj32ELN7rocprim17ROCPRIM_304000_NS17warp_store_methodE3EiEvPT3_S4_.kd
    .uniform_work_group_size: 1
    .uses_dynamic_stack: false
    .vgpr_count:     10
    .vgpr_spill_count: 0
    .wavefront_size: 32
    .workgroup_processor_mode: 1
  - .args:
      - .address_space:  global
        .offset:         0
        .size:           8
        .value_kind:     global_buffer
      - .address_space:  global
        .offset:         8
        .size:           8
        .value_kind:     global_buffer
    .group_segment_fixed_size: 0
    .kernarg_segment_align: 8
    .kernarg_segment_size: 16
    .language:       OpenCL C
    .language_version:
      - 2
      - 0
    .max_flat_workgroup_size: 1024
    .name:           _Z17warp_store_kernelILj1024ELj5ELj32ELN7rocprim17ROCPRIM_304000_NS17warp_store_methodE2EiEvPT3_S4_
    .private_segment_fixed_size: 0
    .sgpr_count:     6
    .sgpr_spill_count: 0
    .symbol:         _Z17warp_store_kernelILj1024ELj5ELj32ELN7rocprim17ROCPRIM_304000_NS17warp_store_methodE2EiEvPT3_S4_.kd
    .uniform_work_group_size: 1
    .uses_dynamic_stack: false
    .vgpr_count:     8
    .vgpr_spill_count: 0
    .wavefront_size: 32
    .workgroup_processor_mode: 1
  - .args:
      - .address_space:  global
        .offset:         0
        .size:           8
        .value_kind:     global_buffer
      - .address_space:  global
        .offset:         8
        .size:           8
        .value_kind:     global_buffer
    .group_segment_fixed_size: 0
    .kernarg_segment_align: 8
    .kernarg_segment_size: 16
    .language:       OpenCL C
    .language_version:
      - 2
      - 0
    .max_flat_workgroup_size: 1024
    .name:           _Z17warp_store_kernelILj1024ELj5ELj32ELN7rocprim17ROCPRIM_304000_NS17warp_store_methodE1EiEvPT3_S4_
    .private_segment_fixed_size: 0
    .sgpr_count:     6
    .sgpr_spill_count: 0
    .symbol:         _Z17warp_store_kernelILj1024ELj5ELj32ELN7rocprim17ROCPRIM_304000_NS17warp_store_methodE1EiEvPT3_S4_.kd
    .uniform_work_group_size: 1
    .uses_dynamic_stack: false
    .vgpr_count:     8
    .vgpr_spill_count: 0
    .wavefront_size: 32
    .workgroup_processor_mode: 1
  - .args:
      - .address_space:  global
        .offset:         0
        .size:           8
        .value_kind:     global_buffer
      - .address_space:  global
        .offset:         8
        .size:           8
        .value_kind:     global_buffer
    .group_segment_fixed_size: 0
    .kernarg_segment_align: 8
    .kernarg_segment_size: 16
    .language:       OpenCL C
    .language_version:
      - 2
      - 0
    .max_flat_workgroup_size: 1024
    .name:           _Z17warp_store_kernelILj1024ELj5ELj32ELN7rocprim17ROCPRIM_304000_NS17warp_store_methodE0EiEvPT3_S4_
    .private_segment_fixed_size: 0
    .sgpr_count:     6
    .sgpr_spill_count: 0
    .symbol:         _Z17warp_store_kernelILj1024ELj5ELj32ELN7rocprim17ROCPRIM_304000_NS17warp_store_methodE0EiEvPT3_S4_.kd
    .uniform_work_group_size: 1
    .uses_dynamic_stack: false
    .vgpr_count:     8
    .vgpr_spill_count: 0
    .wavefront_size: 32
    .workgroup_processor_mode: 1
  - .args:
      - .address_space:  global
        .offset:         0
        .size:           8
        .value_kind:     global_buffer
      - .address_space:  global
        .offset:         8
        .size:           8
        .value_kind:     global_buffer
    .group_segment_fixed_size: 16384
    .kernarg_segment_align: 8
    .kernarg_segment_size: 16
    .language:       OpenCL C
    .language_version:
      - 2
      - 0
    .max_flat_workgroup_size: 1024
    .name:           _Z17warp_store_kernelILj1024ELj4ELj32ELN7rocprim17ROCPRIM_304000_NS17warp_store_methodE3EiEvPT3_S4_
    .private_segment_fixed_size: 0
    .sgpr_count:     6
    .sgpr_spill_count: 0
    .symbol:         _Z17warp_store_kernelILj1024ELj4ELj32ELN7rocprim17ROCPRIM_304000_NS17warp_store_methodE3EiEvPT3_S4_.kd
    .uniform_work_group_size: 1
    .uses_dynamic_stack: false
    .vgpr_count:     8
    .vgpr_spill_count: 0
    .wavefront_size: 32
    .workgroup_processor_mode: 1
  - .args:
      - .address_space:  global
        .offset:         0
        .size:           8
        .value_kind:     global_buffer
      - .address_space:  global
        .offset:         8
        .size:           8
        .value_kind:     global_buffer
    .group_segment_fixed_size: 0
    .kernarg_segment_align: 8
    .kernarg_segment_size: 16
    .language:       OpenCL C
    .language_version:
      - 2
      - 0
    .max_flat_workgroup_size: 1024
    .name:           _Z17warp_store_kernelILj1024ELj4ELj32ELN7rocprim17ROCPRIM_304000_NS17warp_store_methodE2EiEvPT3_S4_
    .private_segment_fixed_size: 0
    .sgpr_count:     6
    .sgpr_spill_count: 0
    .symbol:         _Z17warp_store_kernelILj1024ELj4ELj32ELN7rocprim17ROCPRIM_304000_NS17warp_store_methodE2EiEvPT3_S4_.kd
    .uniform_work_group_size: 1
    .uses_dynamic_stack: false
    .vgpr_count:     7
    .vgpr_spill_count: 0
    .wavefront_size: 32
    .workgroup_processor_mode: 1
  - .args:
      - .address_space:  global
        .offset:         0
        .size:           8
        .value_kind:     global_buffer
      - .address_space:  global
        .offset:         8
        .size:           8
        .value_kind:     global_buffer
    .group_segment_fixed_size: 0
    .kernarg_segment_align: 8
    .kernarg_segment_size: 16
    .language:       OpenCL C
    .language_version:
      - 2
      - 0
    .max_flat_workgroup_size: 1024
    .name:           _Z17warp_store_kernelILj1024ELj4ELj32ELN7rocprim17ROCPRIM_304000_NS17warp_store_methodE1EiEvPT3_S4_
    .private_segment_fixed_size: 0
    .sgpr_count:     6
    .sgpr_spill_count: 0
    .symbol:         _Z17warp_store_kernelILj1024ELj4ELj32ELN7rocprim17ROCPRIM_304000_NS17warp_store_methodE1EiEvPT3_S4_.kd
    .uniform_work_group_size: 1
    .uses_dynamic_stack: false
    .vgpr_count:     7
    .vgpr_spill_count: 0
    .wavefront_size: 32
    .workgroup_processor_mode: 1
  - .args:
      - .address_space:  global
        .offset:         0
        .size:           8
        .value_kind:     global_buffer
      - .address_space:  global
        .offset:         8
        .size:           8
        .value_kind:     global_buffer
    .group_segment_fixed_size: 0
    .kernarg_segment_align: 8
    .kernarg_segment_size: 16
    .language:       OpenCL C
    .language_version:
      - 2
      - 0
    .max_flat_workgroup_size: 1024
    .name:           _Z17warp_store_kernelILj1024ELj4ELj32ELN7rocprim17ROCPRIM_304000_NS17warp_store_methodE0EiEvPT3_S4_
    .private_segment_fixed_size: 0
    .sgpr_count:     6
    .sgpr_spill_count: 0
    .symbol:         _Z17warp_store_kernelILj1024ELj4ELj32ELN7rocprim17ROCPRIM_304000_NS17warp_store_methodE0EiEvPT3_S4_.kd
    .uniform_work_group_size: 1
    .uses_dynamic_stack: false
    .vgpr_count:     7
    .vgpr_spill_count: 0
    .wavefront_size: 32
    .workgroup_processor_mode: 1
  - .args:
      - .address_space:  global
        .offset:         0
        .size:           8
        .value_kind:     global_buffer
      - .address_space:  global
        .offset:         8
        .size:           8
        .value_kind:     global_buffer
    .group_segment_fixed_size: 16384
    .kernarg_segment_align: 8
    .kernarg_segment_size: 16
    .language:       OpenCL C
    .language_version:
      - 2
      - 0
    .max_flat_workgroup_size: 1024
    .name:           _Z17warp_store_kernelILj1024ELj4ELj8ELN7rocprim17ROCPRIM_304000_NS17warp_store_methodE3EiEvPT3_S4_
    .private_segment_fixed_size: 0
    .sgpr_count:     6
    .sgpr_spill_count: 0
    .symbol:         _Z17warp_store_kernelILj1024ELj4ELj8ELN7rocprim17ROCPRIM_304000_NS17warp_store_methodE3EiEvPT3_S4_.kd
    .uniform_work_group_size: 1
    .uses_dynamic_stack: false
    .vgpr_count:     8
    .vgpr_spill_count: 0
    .wavefront_size: 32
    .workgroup_processor_mode: 1
  - .args:
      - .address_space:  global
        .offset:         0
        .size:           8
        .value_kind:     global_buffer
      - .address_space:  global
        .offset:         8
        .size:           8
        .value_kind:     global_buffer
    .group_segment_fixed_size: 0
    .kernarg_segment_align: 8
    .kernarg_segment_size: 16
    .language:       OpenCL C
    .language_version:
      - 2
      - 0
    .max_flat_workgroup_size: 1024
    .name:           _Z17warp_store_kernelILj1024ELj4ELj8ELN7rocprim17ROCPRIM_304000_NS17warp_store_methodE2EiEvPT3_S4_
    .private_segment_fixed_size: 0
    .sgpr_count:     6
    .sgpr_spill_count: 0
    .symbol:         _Z17warp_store_kernelILj1024ELj4ELj8ELN7rocprim17ROCPRIM_304000_NS17warp_store_methodE2EiEvPT3_S4_.kd
    .uniform_work_group_size: 1
    .uses_dynamic_stack: false
    .vgpr_count:     7
    .vgpr_spill_count: 0
    .wavefront_size: 32
    .workgroup_processor_mode: 1
  - .args:
      - .address_space:  global
        .offset:         0
        .size:           8
        .value_kind:     global_buffer
      - .address_space:  global
        .offset:         8
        .size:           8
        .value_kind:     global_buffer
    .group_segment_fixed_size: 0
    .kernarg_segment_align: 8
    .kernarg_segment_size: 16
    .language:       OpenCL C
    .language_version:
      - 2
      - 0
    .max_flat_workgroup_size: 1024
    .name:           _Z17warp_store_kernelILj1024ELj4ELj8ELN7rocprim17ROCPRIM_304000_NS17warp_store_methodE1EiEvPT3_S4_
    .private_segment_fixed_size: 0
    .sgpr_count:     6
    .sgpr_spill_count: 0
    .symbol:         _Z17warp_store_kernelILj1024ELj4ELj8ELN7rocprim17ROCPRIM_304000_NS17warp_store_methodE1EiEvPT3_S4_.kd
    .uniform_work_group_size: 1
    .uses_dynamic_stack: false
    .vgpr_count:     7
    .vgpr_spill_count: 0
    .wavefront_size: 32
    .workgroup_processor_mode: 1
  - .args:
      - .address_space:  global
        .offset:         0
        .size:           8
        .value_kind:     global_buffer
      - .address_space:  global
        .offset:         8
        .size:           8
        .value_kind:     global_buffer
    .group_segment_fixed_size: 0
    .kernarg_segment_align: 8
    .kernarg_segment_size: 16
    .language:       OpenCL C
    .language_version:
      - 2
      - 0
    .max_flat_workgroup_size: 1024
    .name:           _Z17warp_store_kernelILj1024ELj4ELj8ELN7rocprim17ROCPRIM_304000_NS17warp_store_methodE0EiEvPT3_S4_
    .private_segment_fixed_size: 0
    .sgpr_count:     6
    .sgpr_spill_count: 0
    .symbol:         _Z17warp_store_kernelILj1024ELj4ELj8ELN7rocprim17ROCPRIM_304000_NS17warp_store_methodE0EiEvPT3_S4_.kd
    .uniform_work_group_size: 1
    .uses_dynamic_stack: false
    .vgpr_count:     7
    .vgpr_spill_count: 0
    .wavefront_size: 32
    .workgroup_processor_mode: 1
  - .args:
      - .address_space:  global
        .offset:         0
        .size:           8
        .value_kind:     global_buffer
      - .address_space:  global
        .offset:         8
        .size:           8
        .value_kind:     global_buffer
      - .offset:         16
        .size:           4
        .value_kind:     by_value
    .group_segment_fixed_size: 8192
    .kernarg_segment_align: 8
    .kernarg_segment_size: 20
    .language:       OpenCL C
    .language_version:
      - 2
      - 0
    .max_flat_workgroup_size: 1024
    .name:           _Z25warp_store_guarded_kernelILj1024ELj4ELj1ELN7rocprim17ROCPRIM_304000_NS17warp_store_methodE3E12hip_bfloat16EvPT3_S5_i
    .private_segment_fixed_size: 0
    .sgpr_count:     8
    .sgpr_spill_count: 0
    .symbol:         _Z25warp_store_guarded_kernelILj1024ELj4ELj1ELN7rocprim17ROCPRIM_304000_NS17warp_store_methodE3E12hip_bfloat16EvPT3_S5_i.kd
    .uniform_work_group_size: 1
    .uses_dynamic_stack: false
    .vgpr_count:     5
    .vgpr_spill_count: 0
    .wavefront_size: 32
    .workgroup_processor_mode: 1
  - .args:
      - .address_space:  global
        .offset:         0
        .size:           8
        .value_kind:     global_buffer
      - .address_space:  global
        .offset:         8
        .size:           8
        .value_kind:     global_buffer
      - .offset:         16
        .size:           4
        .value_kind:     by_value
    .group_segment_fixed_size: 0
    .kernarg_segment_align: 8
    .kernarg_segment_size: 20
    .language:       OpenCL C
    .language_version:
      - 2
      - 0
    .max_flat_workgroup_size: 1024
    .name:           _Z25warp_store_guarded_kernelILj1024ELj4ELj1ELN7rocprim17ROCPRIM_304000_NS17warp_store_methodE2E12hip_bfloat16EvPT3_S5_i
    .private_segment_fixed_size: 0
    .sgpr_count:     8
    .sgpr_spill_count: 0
    .symbol:         _Z25warp_store_guarded_kernelILj1024ELj4ELj1ELN7rocprim17ROCPRIM_304000_NS17warp_store_methodE2E12hip_bfloat16EvPT3_S5_i.kd
    .uniform_work_group_size: 1
    .uses_dynamic_stack: false
    .vgpr_count:     6
    .vgpr_spill_count: 0
    .wavefront_size: 32
    .workgroup_processor_mode: 1
  - .args:
      - .address_space:  global
        .offset:         0
        .size:           8
        .value_kind:     global_buffer
      - .address_space:  global
        .offset:         8
        .size:           8
        .value_kind:     global_buffer
      - .offset:         16
        .size:           4
        .value_kind:     by_value
    .group_segment_fixed_size: 0
    .kernarg_segment_align: 8
    .kernarg_segment_size: 20
    .language:       OpenCL C
    .language_version:
      - 2
      - 0
    .max_flat_workgroup_size: 1024
    .name:           _Z25warp_store_guarded_kernelILj1024ELj4ELj1ELN7rocprim17ROCPRIM_304000_NS17warp_store_methodE1E12hip_bfloat16EvPT3_S5_i
    .private_segment_fixed_size: 0
    .sgpr_count:     8
    .sgpr_spill_count: 0
    .symbol:         _Z25warp_store_guarded_kernelILj1024ELj4ELj1ELN7rocprim17ROCPRIM_304000_NS17warp_store_methodE1E12hip_bfloat16EvPT3_S5_i.kd
    .uniform_work_group_size: 1
    .uses_dynamic_stack: false
    .vgpr_count:     6
    .vgpr_spill_count: 0
    .wavefront_size: 32
    .workgroup_processor_mode: 1
  - .args:
      - .address_space:  global
        .offset:         0
        .size:           8
        .value_kind:     global_buffer
      - .address_space:  global
        .offset:         8
        .size:           8
        .value_kind:     global_buffer
      - .offset:         16
        .size:           4
        .value_kind:     by_value
    .group_segment_fixed_size: 0
    .kernarg_segment_align: 8
    .kernarg_segment_size: 20
    .language:       OpenCL C
    .language_version:
      - 2
      - 0
    .max_flat_workgroup_size: 1024
    .name:           _Z25warp_store_guarded_kernelILj1024ELj4ELj1ELN7rocprim17ROCPRIM_304000_NS17warp_store_methodE0E12hip_bfloat16EvPT3_S5_i
    .private_segment_fixed_size: 0
    .sgpr_count:     8
    .sgpr_spill_count: 0
    .symbol:         _Z25warp_store_guarded_kernelILj1024ELj4ELj1ELN7rocprim17ROCPRIM_304000_NS17warp_store_methodE0E12hip_bfloat16EvPT3_S5_i.kd
    .uniform_work_group_size: 1
    .uses_dynamic_stack: false
    .vgpr_count:     6
    .vgpr_spill_count: 0
    .wavefront_size: 32
    .workgroup_processor_mode: 1
  - .args:
      - .address_space:  global
        .offset:         0
        .size:           8
        .value_kind:     global_buffer
      - .address_space:  global
        .offset:         8
        .size:           8
        .value_kind:     global_buffer
      - .offset:         16
        .size:           4
        .value_kind:     by_value
    .group_segment_fixed_size: 32768
    .kernarg_segment_align: 8
    .kernarg_segment_size: 20
    .language:       OpenCL C
    .language_version:
      - 2
      - 0
    .max_flat_workgroup_size: 1024
    .name:           _Z25warp_store_guarded_kernelILj1024ELj4ELj1ELN7rocprim17ROCPRIM_304000_NS17warp_store_methodE3EdEvPT3_S4_i
    .private_segment_fixed_size: 0
    .sgpr_count:     8
    .sgpr_spill_count: 0
    .symbol:         _Z25warp_store_guarded_kernelILj1024ELj4ELj1ELN7rocprim17ROCPRIM_304000_NS17warp_store_methodE3EdEvPT3_S4_i.kd
    .uniform_work_group_size: 1
    .uses_dynamic_stack: false
    .vgpr_count:     11
    .vgpr_spill_count: 0
    .wavefront_size: 32
    .workgroup_processor_mode: 1
  - .args:
      - .address_space:  global
        .offset:         0
        .size:           8
        .value_kind:     global_buffer
      - .address_space:  global
        .offset:         8
        .size:           8
        .value_kind:     global_buffer
      - .offset:         16
        .size:           4
        .value_kind:     by_value
    .group_segment_fixed_size: 0
    .kernarg_segment_align: 8
    .kernarg_segment_size: 20
    .language:       OpenCL C
    .language_version:
      - 2
      - 0
    .max_flat_workgroup_size: 1024
    .name:           _Z25warp_store_guarded_kernelILj1024ELj4ELj1ELN7rocprim17ROCPRIM_304000_NS17warp_store_methodE2EdEvPT3_S4_i
    .private_segment_fixed_size: 0
    .sgpr_count:     8
    .sgpr_spill_count: 0
    .symbol:         _Z25warp_store_guarded_kernelILj1024ELj4ELj1ELN7rocprim17ROCPRIM_304000_NS17warp_store_methodE2EdEvPT3_S4_i.kd
    .uniform_work_group_size: 1
    .uses_dynamic_stack: false
    .vgpr_count:     10
    .vgpr_spill_count: 0
    .wavefront_size: 32
    .workgroup_processor_mode: 1
  - .args:
      - .address_space:  global
        .offset:         0
        .size:           8
        .value_kind:     global_buffer
      - .address_space:  global
        .offset:         8
        .size:           8
        .value_kind:     global_buffer
      - .offset:         16
        .size:           4
        .value_kind:     by_value
    .group_segment_fixed_size: 0
    .kernarg_segment_align: 8
    .kernarg_segment_size: 20
    .language:       OpenCL C
    .language_version:
      - 2
      - 0
    .max_flat_workgroup_size: 1024
    .name:           _Z25warp_store_guarded_kernelILj1024ELj4ELj1ELN7rocprim17ROCPRIM_304000_NS17warp_store_methodE1EdEvPT3_S4_i
    .private_segment_fixed_size: 0
    .sgpr_count:     8
    .sgpr_spill_count: 0
    .symbol:         _Z25warp_store_guarded_kernelILj1024ELj4ELj1ELN7rocprim17ROCPRIM_304000_NS17warp_store_methodE1EdEvPT3_S4_i.kd
    .uniform_work_group_size: 1
    .uses_dynamic_stack: false
    .vgpr_count:     10
    .vgpr_spill_count: 0
    .wavefront_size: 32
    .workgroup_processor_mode: 1
  - .args:
      - .address_space:  global
        .offset:         0
        .size:           8
        .value_kind:     global_buffer
      - .address_space:  global
        .offset:         8
        .size:           8
        .value_kind:     global_buffer
      - .offset:         16
        .size:           4
        .value_kind:     by_value
    .group_segment_fixed_size: 0
    .kernarg_segment_align: 8
    .kernarg_segment_size: 20
    .language:       OpenCL C
    .language_version:
      - 2
      - 0
    .max_flat_workgroup_size: 1024
    .name:           _Z25warp_store_guarded_kernelILj1024ELj4ELj1ELN7rocprim17ROCPRIM_304000_NS17warp_store_methodE0EdEvPT3_S4_i
    .private_segment_fixed_size: 0
    .sgpr_count:     8
    .sgpr_spill_count: 0
    .symbol:         _Z25warp_store_guarded_kernelILj1024ELj4ELj1ELN7rocprim17ROCPRIM_304000_NS17warp_store_methodE0EdEvPT3_S4_i.kd
    .uniform_work_group_size: 1
    .uses_dynamic_stack: false
    .vgpr_count:     10
    .vgpr_spill_count: 0
    .wavefront_size: 32
    .workgroup_processor_mode: 1
  - .args:
      - .address_space:  global
        .offset:         0
        .size:           8
        .value_kind:     global_buffer
      - .address_space:  global
        .offset:         8
        .size:           8
        .value_kind:     global_buffer
      - .offset:         16
        .size:           4
        .value_kind:     by_value
    .group_segment_fixed_size: 16384
    .kernarg_segment_align: 8
    .kernarg_segment_size: 20
    .language:       OpenCL C
    .language_version:
      - 2
      - 0
    .max_flat_workgroup_size: 1024
    .name:           _Z25warp_store_guarded_kernelILj1024ELj4ELj1ELN7rocprim17ROCPRIM_304000_NS17warp_store_methodE3EfEvPT3_S4_i
    .private_segment_fixed_size: 0
    .sgpr_count:     8
    .sgpr_spill_count: 0
    .symbol:         _Z25warp_store_guarded_kernelILj1024ELj4ELj1ELN7rocprim17ROCPRIM_304000_NS17warp_store_methodE3EfEvPT3_S4_i.kd
    .uniform_work_group_size: 1
    .uses_dynamic_stack: false
    .vgpr_count:     9
    .vgpr_spill_count: 0
    .wavefront_size: 32
    .workgroup_processor_mode: 1
  - .args:
      - .address_space:  global
        .offset:         0
        .size:           8
        .value_kind:     global_buffer
      - .address_space:  global
        .offset:         8
        .size:           8
        .value_kind:     global_buffer
      - .offset:         16
        .size:           4
        .value_kind:     by_value
    .group_segment_fixed_size: 0
    .kernarg_segment_align: 8
    .kernarg_segment_size: 20
    .language:       OpenCL C
    .language_version:
      - 2
      - 0
    .max_flat_workgroup_size: 1024
    .name:           _Z25warp_store_guarded_kernelILj1024ELj4ELj1ELN7rocprim17ROCPRIM_304000_NS17warp_store_methodE2EfEvPT3_S4_i
    .private_segment_fixed_size: 0
    .sgpr_count:     8
    .sgpr_spill_count: 0
    .symbol:         _Z25warp_store_guarded_kernelILj1024ELj4ELj1ELN7rocprim17ROCPRIM_304000_NS17warp_store_methodE2EfEvPT3_S4_i.kd
    .uniform_work_group_size: 1
    .uses_dynamic_stack: false
    .vgpr_count:     7
    .vgpr_spill_count: 0
    .wavefront_size: 32
    .workgroup_processor_mode: 1
  - .args:
      - .address_space:  global
        .offset:         0
        .size:           8
        .value_kind:     global_buffer
      - .address_space:  global
        .offset:         8
        .size:           8
        .value_kind:     global_buffer
      - .offset:         16
        .size:           4
        .value_kind:     by_value
    .group_segment_fixed_size: 0
    .kernarg_segment_align: 8
    .kernarg_segment_size: 20
    .language:       OpenCL C
    .language_version:
      - 2
      - 0
    .max_flat_workgroup_size: 1024
    .name:           _Z25warp_store_guarded_kernelILj1024ELj4ELj1ELN7rocprim17ROCPRIM_304000_NS17warp_store_methodE1EfEvPT3_S4_i
    .private_segment_fixed_size: 0
    .sgpr_count:     8
    .sgpr_spill_count: 0
    .symbol:         _Z25warp_store_guarded_kernelILj1024ELj4ELj1ELN7rocprim17ROCPRIM_304000_NS17warp_store_methodE1EfEvPT3_S4_i.kd
    .uniform_work_group_size: 1
    .uses_dynamic_stack: false
    .vgpr_count:     7
    .vgpr_spill_count: 0
    .wavefront_size: 32
    .workgroup_processor_mode: 1
  - .args:
      - .address_space:  global
        .offset:         0
        .size:           8
        .value_kind:     global_buffer
      - .address_space:  global
        .offset:         8
        .size:           8
        .value_kind:     global_buffer
      - .offset:         16
        .size:           4
        .value_kind:     by_value
    .group_segment_fixed_size: 0
    .kernarg_segment_align: 8
    .kernarg_segment_size: 20
    .language:       OpenCL C
    .language_version:
      - 2
      - 0
    .max_flat_workgroup_size: 1024
    .name:           _Z25warp_store_guarded_kernelILj1024ELj4ELj1ELN7rocprim17ROCPRIM_304000_NS17warp_store_methodE0EfEvPT3_S4_i
    .private_segment_fixed_size: 0
    .sgpr_count:     8
    .sgpr_spill_count: 0
    .symbol:         _Z25warp_store_guarded_kernelILj1024ELj4ELj1ELN7rocprim17ROCPRIM_304000_NS17warp_store_methodE0EfEvPT3_S4_i.kd
    .uniform_work_group_size: 1
    .uses_dynamic_stack: false
    .vgpr_count:     7
    .vgpr_spill_count: 0
    .wavefront_size: 32
    .workgroup_processor_mode: 1
  - .args:
      - .address_space:  global
        .offset:         0
        .size:           8
        .value_kind:     global_buffer
      - .address_space:  global
        .offset:         8
        .size:           8
        .value_kind:     global_buffer
      - .offset:         16
        .size:           4
        .value_kind:     by_value
    .group_segment_fixed_size: 4096
    .kernarg_segment_align: 8
    .kernarg_segment_size: 20
    .language:       OpenCL C
    .language_version:
      - 2
      - 0
    .max_flat_workgroup_size: 1024
    .name:           _Z25warp_store_guarded_kernelILj1024ELj4ELj1ELN7rocprim17ROCPRIM_304000_NS17warp_store_methodE3EhEvPT3_S4_i
    .private_segment_fixed_size: 0
    .sgpr_count:     8
    .sgpr_spill_count: 0
    .symbol:         _Z25warp_store_guarded_kernelILj1024ELj4ELj1ELN7rocprim17ROCPRIM_304000_NS17warp_store_methodE3EhEvPT3_S4_i.kd
    .uniform_work_group_size: 1
    .uses_dynamic_stack: false
    .vgpr_count:     4
    .vgpr_spill_count: 0
    .wavefront_size: 32
    .workgroup_processor_mode: 1
  - .args:
      - .address_space:  global
        .offset:         0
        .size:           8
        .value_kind:     global_buffer
      - .address_space:  global
        .offset:         8
        .size:           8
        .value_kind:     global_buffer
      - .offset:         16
        .size:           4
        .value_kind:     by_value
    .group_segment_fixed_size: 0
    .kernarg_segment_align: 8
    .kernarg_segment_size: 20
    .language:       OpenCL C
    .language_version:
      - 2
      - 0
    .max_flat_workgroup_size: 1024
    .name:           _Z25warp_store_guarded_kernelILj1024ELj4ELj1ELN7rocprim17ROCPRIM_304000_NS17warp_store_methodE2EhEvPT3_S4_i
    .private_segment_fixed_size: 0
    .sgpr_count:     8
    .sgpr_spill_count: 0
    .symbol:         _Z25warp_store_guarded_kernelILj1024ELj4ELj1ELN7rocprim17ROCPRIM_304000_NS17warp_store_methodE2EhEvPT3_S4_i.kd
    .uniform_work_group_size: 1
    .uses_dynamic_stack: false
    .vgpr_count:     7
    .vgpr_spill_count: 0
    .wavefront_size: 32
    .workgroup_processor_mode: 1
  - .args:
      - .address_space:  global
        .offset:         0
        .size:           8
        .value_kind:     global_buffer
      - .address_space:  global
        .offset:         8
        .size:           8
        .value_kind:     global_buffer
      - .offset:         16
        .size:           4
        .value_kind:     by_value
    .group_segment_fixed_size: 0
    .kernarg_segment_align: 8
    .kernarg_segment_size: 20
    .language:       OpenCL C
    .language_version:
      - 2
      - 0
    .max_flat_workgroup_size: 1024
    .name:           _Z25warp_store_guarded_kernelILj1024ELj4ELj1ELN7rocprim17ROCPRIM_304000_NS17warp_store_methodE1EhEvPT3_S4_i
    .private_segment_fixed_size: 0
    .sgpr_count:     8
    .sgpr_spill_count: 0
    .symbol:         _Z25warp_store_guarded_kernelILj1024ELj4ELj1ELN7rocprim17ROCPRIM_304000_NS17warp_store_methodE1EhEvPT3_S4_i.kd
    .uniform_work_group_size: 1
    .uses_dynamic_stack: false
    .vgpr_count:     7
    .vgpr_spill_count: 0
    .wavefront_size: 32
    .workgroup_processor_mode: 1
  - .args:
      - .address_space:  global
        .offset:         0
        .size:           8
        .value_kind:     global_buffer
      - .address_space:  global
        .offset:         8
        .size:           8
        .value_kind:     global_buffer
      - .offset:         16
        .size:           4
        .value_kind:     by_value
    .group_segment_fixed_size: 0
    .kernarg_segment_align: 8
    .kernarg_segment_size: 20
    .language:       OpenCL C
    .language_version:
      - 2
      - 0
    .max_flat_workgroup_size: 1024
    .name:           _Z25warp_store_guarded_kernelILj1024ELj4ELj1ELN7rocprim17ROCPRIM_304000_NS17warp_store_methodE0EhEvPT3_S4_i
    .private_segment_fixed_size: 0
    .sgpr_count:     8
    .sgpr_spill_count: 0
    .symbol:         _Z25warp_store_guarded_kernelILj1024ELj4ELj1ELN7rocprim17ROCPRIM_304000_NS17warp_store_methodE0EhEvPT3_S4_i.kd
    .uniform_work_group_size: 1
    .uses_dynamic_stack: false
    .vgpr_count:     7
    .vgpr_spill_count: 0
    .wavefront_size: 32
    .workgroup_processor_mode: 1
  - .args:
      - .address_space:  global
        .offset:         0
        .size:           8
        .value_kind:     global_buffer
      - .address_space:  global
        .offset:         8
        .size:           8
        .value_kind:     global_buffer
      - .offset:         16
        .size:           4
        .value_kind:     by_value
    .group_segment_fixed_size: 4096
    .kernarg_segment_align: 8
    .kernarg_segment_size: 20
    .language:       OpenCL C
    .language_version:
      - 2
      - 0
    .max_flat_workgroup_size: 1024
    .name:           _Z25warp_store_guarded_kernelILj1024ELj4ELj1ELN7rocprim17ROCPRIM_304000_NS17warp_store_methodE3EaEvPT3_S4_i
    .private_segment_fixed_size: 0
    .sgpr_count:     8
    .sgpr_spill_count: 0
    .symbol:         _Z25warp_store_guarded_kernelILj1024ELj4ELj1ELN7rocprim17ROCPRIM_304000_NS17warp_store_methodE3EaEvPT3_S4_i.kd
    .uniform_work_group_size: 1
    .uses_dynamic_stack: false
    .vgpr_count:     4
    .vgpr_spill_count: 0
    .wavefront_size: 32
    .workgroup_processor_mode: 1
  - .args:
      - .address_space:  global
        .offset:         0
        .size:           8
        .value_kind:     global_buffer
      - .address_space:  global
        .offset:         8
        .size:           8
        .value_kind:     global_buffer
      - .offset:         16
        .size:           4
        .value_kind:     by_value
    .group_segment_fixed_size: 0
    .kernarg_segment_align: 8
    .kernarg_segment_size: 20
    .language:       OpenCL C
    .language_version:
      - 2
      - 0
    .max_flat_workgroup_size: 1024
    .name:           _Z25warp_store_guarded_kernelILj1024ELj4ELj1ELN7rocprim17ROCPRIM_304000_NS17warp_store_methodE2EaEvPT3_S4_i
    .private_segment_fixed_size: 0
    .sgpr_count:     8
    .sgpr_spill_count: 0
    .symbol:         _Z25warp_store_guarded_kernelILj1024ELj4ELj1ELN7rocprim17ROCPRIM_304000_NS17warp_store_methodE2EaEvPT3_S4_i.kd
    .uniform_work_group_size: 1
    .uses_dynamic_stack: false
    .vgpr_count:     7
    .vgpr_spill_count: 0
    .wavefront_size: 32
    .workgroup_processor_mode: 1
  - .args:
      - .address_space:  global
        .offset:         0
        .size:           8
        .value_kind:     global_buffer
      - .address_space:  global
        .offset:         8
        .size:           8
        .value_kind:     global_buffer
      - .offset:         16
        .size:           4
        .value_kind:     by_value
    .group_segment_fixed_size: 0
    .kernarg_segment_align: 8
    .kernarg_segment_size: 20
    .language:       OpenCL C
    .language_version:
      - 2
      - 0
    .max_flat_workgroup_size: 1024
    .name:           _Z25warp_store_guarded_kernelILj1024ELj4ELj1ELN7rocprim17ROCPRIM_304000_NS17warp_store_methodE1EaEvPT3_S4_i
    .private_segment_fixed_size: 0
    .sgpr_count:     8
    .sgpr_spill_count: 0
    .symbol:         _Z25warp_store_guarded_kernelILj1024ELj4ELj1ELN7rocprim17ROCPRIM_304000_NS17warp_store_methodE1EaEvPT3_S4_i.kd
    .uniform_work_group_size: 1
    .uses_dynamic_stack: false
    .vgpr_count:     7
    .vgpr_spill_count: 0
    .wavefront_size: 32
    .workgroup_processor_mode: 1
  - .args:
      - .address_space:  global
        .offset:         0
        .size:           8
        .value_kind:     global_buffer
      - .address_space:  global
        .offset:         8
        .size:           8
        .value_kind:     global_buffer
      - .offset:         16
        .size:           4
        .value_kind:     by_value
    .group_segment_fixed_size: 0
    .kernarg_segment_align: 8
    .kernarg_segment_size: 20
    .language:       OpenCL C
    .language_version:
      - 2
      - 0
    .max_flat_workgroup_size: 1024
    .name:           _Z25warp_store_guarded_kernelILj1024ELj4ELj1ELN7rocprim17ROCPRIM_304000_NS17warp_store_methodE0EaEvPT3_S4_i
    .private_segment_fixed_size: 0
    .sgpr_count:     8
    .sgpr_spill_count: 0
    .symbol:         _Z25warp_store_guarded_kernelILj1024ELj4ELj1ELN7rocprim17ROCPRIM_304000_NS17warp_store_methodE0EaEvPT3_S4_i.kd
    .uniform_work_group_size: 1
    .uses_dynamic_stack: false
    .vgpr_count:     7
    .vgpr_spill_count: 0
    .wavefront_size: 32
    .workgroup_processor_mode: 1
  - .args:
      - .address_space:  global
        .offset:         0
        .size:           8
        .value_kind:     global_buffer
      - .address_space:  global
        .offset:         8
        .size:           8
        .value_kind:     global_buffer
      - .offset:         16
        .size:           4
        .value_kind:     by_value
    .group_segment_fixed_size: 32768
    .kernarg_segment_align: 8
    .kernarg_segment_size: 20
    .language:       OpenCL C
    .language_version:
      - 2
      - 0
    .max_flat_workgroup_size: 1024
    .name:           _Z25warp_store_guarded_kernelILj1024ELj4ELj32ELN7rocprim17ROCPRIM_304000_NS17warp_store_methodE3E15HIP_vector_typeIfLj2EEEvPT3_S6_i
    .private_segment_fixed_size: 0
    .sgpr_count:     10
    .sgpr_spill_count: 0
    .symbol:         _Z25warp_store_guarded_kernelILj1024ELj4ELj32ELN7rocprim17ROCPRIM_304000_NS17warp_store_methodE3E15HIP_vector_typeIfLj2EEEvPT3_S6_i.kd
    .uniform_work_group_size: 1
    .uses_dynamic_stack: false
    .vgpr_count:     13
    .vgpr_spill_count: 0
    .wavefront_size: 32
    .workgroup_processor_mode: 1
  - .args:
      - .address_space:  global
        .offset:         0
        .size:           8
        .value_kind:     global_buffer
      - .address_space:  global
        .offset:         8
        .size:           8
        .value_kind:     global_buffer
      - .offset:         16
        .size:           4
        .value_kind:     by_value
    .group_segment_fixed_size: 0
    .kernarg_segment_align: 8
    .kernarg_segment_size: 20
    .language:       OpenCL C
    .language_version:
      - 2
      - 0
    .max_flat_workgroup_size: 1024
    .name:           _Z25warp_store_guarded_kernelILj1024ELj4ELj32ELN7rocprim17ROCPRIM_304000_NS17warp_store_methodE2E15HIP_vector_typeIfLj2EEEvPT3_S6_i
    .private_segment_fixed_size: 0
    .sgpr_count:     10
    .sgpr_spill_count: 0
    .symbol:         _Z25warp_store_guarded_kernelILj1024ELj4ELj32ELN7rocprim17ROCPRIM_304000_NS17warp_store_methodE2E15HIP_vector_typeIfLj2EEEvPT3_S6_i.kd
    .uniform_work_group_size: 1
    .uses_dynamic_stack: false
    .vgpr_count:     12
    .vgpr_spill_count: 0
    .wavefront_size: 32
    .workgroup_processor_mode: 1
  - .args:
      - .address_space:  global
        .offset:         0
        .size:           8
        .value_kind:     global_buffer
      - .address_space:  global
        .offset:         8
        .size:           8
        .value_kind:     global_buffer
      - .offset:         16
        .size:           4
        .value_kind:     by_value
    .group_segment_fixed_size: 0
    .kernarg_segment_align: 8
    .kernarg_segment_size: 20
    .language:       OpenCL C
    .language_version:
      - 2
      - 0
    .max_flat_workgroup_size: 1024
    .name:           _Z25warp_store_guarded_kernelILj1024ELj4ELj32ELN7rocprim17ROCPRIM_304000_NS17warp_store_methodE1E15HIP_vector_typeIfLj2EEEvPT3_S6_i
    .private_segment_fixed_size: 0
    .sgpr_count:     10
    .sgpr_spill_count: 0
    .symbol:         _Z25warp_store_guarded_kernelILj1024ELj4ELj32ELN7rocprim17ROCPRIM_304000_NS17warp_store_methodE1E15HIP_vector_typeIfLj2EEEvPT3_S6_i.kd
    .uniform_work_group_size: 1
    .uses_dynamic_stack: false
    .vgpr_count:     11
    .vgpr_spill_count: 0
    .wavefront_size: 32
    .workgroup_processor_mode: 1
  - .args:
      - .address_space:  global
        .offset:         0
        .size:           8
        .value_kind:     global_buffer
      - .address_space:  global
        .offset:         8
        .size:           8
        .value_kind:     global_buffer
      - .offset:         16
        .size:           4
        .value_kind:     by_value
    .group_segment_fixed_size: 0
    .kernarg_segment_align: 8
    .kernarg_segment_size: 20
    .language:       OpenCL C
    .language_version:
      - 2
      - 0
    .max_flat_workgroup_size: 1024
    .name:           _Z25warp_store_guarded_kernelILj1024ELj4ELj32ELN7rocprim17ROCPRIM_304000_NS17warp_store_methodE0E15HIP_vector_typeIfLj2EEEvPT3_S6_i
    .private_segment_fixed_size: 0
    .sgpr_count:     10
    .sgpr_spill_count: 0
    .symbol:         _Z25warp_store_guarded_kernelILj1024ELj4ELj32ELN7rocprim17ROCPRIM_304000_NS17warp_store_methodE0E15HIP_vector_typeIfLj2EEEvPT3_S6_i.kd
    .uniform_work_group_size: 1
    .uses_dynamic_stack: false
    .vgpr_count:     12
    .vgpr_spill_count: 0
    .wavefront_size: 32
    .workgroup_processor_mode: 1
  - .args:
      - .address_space:  global
        .offset:         0
        .size:           8
        .value_kind:     global_buffer
      - .address_space:  global
        .offset:         8
        .size:           8
        .value_kind:     global_buffer
      - .offset:         16
        .size:           4
        .value_kind:     by_value
    .group_segment_fixed_size: 0
    .kernarg_segment_align: 8
    .kernarg_segment_size: 20
    .language:       OpenCL C
    .language_version:
      - 2
      - 0
    .max_flat_workgroup_size: 1024
    .name:           _Z25warp_store_guarded_kernelILj1024ELj4ELj64ELN7rocprim17ROCPRIM_304000_NS17warp_store_methodE3EiEvPT3_S4_i
    .private_segment_fixed_size: 0
    .sgpr_count:     0
    .sgpr_spill_count: 0
    .symbol:         _Z25warp_store_guarded_kernelILj1024ELj4ELj64ELN7rocprim17ROCPRIM_304000_NS17warp_store_methodE3EiEvPT3_S4_i.kd
    .uniform_work_group_size: 1
    .uses_dynamic_stack: false
    .vgpr_count:     0
    .vgpr_spill_count: 0
    .wavefront_size: 32
    .workgroup_processor_mode: 1
  - .args:
      - .address_space:  global
        .offset:         0
        .size:           8
        .value_kind:     global_buffer
      - .address_space:  global
        .offset:         8
        .size:           8
        .value_kind:     global_buffer
      - .offset:         16
        .size:           4
        .value_kind:     by_value
    .group_segment_fixed_size: 0
    .kernarg_segment_align: 8
    .kernarg_segment_size: 20
    .language:       OpenCL C
    .language_version:
      - 2
      - 0
    .max_flat_workgroup_size: 1024
    .name:           _Z25warp_store_guarded_kernelILj1024ELj4ELj64ELN7rocprim17ROCPRIM_304000_NS17warp_store_methodE2EiEvPT3_S4_i
    .private_segment_fixed_size: 0
    .sgpr_count:     0
    .sgpr_spill_count: 0
    .symbol:         _Z25warp_store_guarded_kernelILj1024ELj4ELj64ELN7rocprim17ROCPRIM_304000_NS17warp_store_methodE2EiEvPT3_S4_i.kd
    .uniform_work_group_size: 1
    .uses_dynamic_stack: false
    .vgpr_count:     0
    .vgpr_spill_count: 0
    .wavefront_size: 32
    .workgroup_processor_mode: 1
  - .args:
      - .address_space:  global
        .offset:         0
        .size:           8
        .value_kind:     global_buffer
      - .address_space:  global
        .offset:         8
        .size:           8
        .value_kind:     global_buffer
      - .offset:         16
        .size:           4
        .value_kind:     by_value
    .group_segment_fixed_size: 0
    .kernarg_segment_align: 8
    .kernarg_segment_size: 20
    .language:       OpenCL C
    .language_version:
      - 2
      - 0
    .max_flat_workgroup_size: 1024
    .name:           _Z25warp_store_guarded_kernelILj1024ELj4ELj64ELN7rocprim17ROCPRIM_304000_NS17warp_store_methodE1EiEvPT3_S4_i
    .private_segment_fixed_size: 0
    .sgpr_count:     0
    .sgpr_spill_count: 0
    .symbol:         _Z25warp_store_guarded_kernelILj1024ELj4ELj64ELN7rocprim17ROCPRIM_304000_NS17warp_store_methodE1EiEvPT3_S4_i.kd
    .uniform_work_group_size: 1
    .uses_dynamic_stack: false
    .vgpr_count:     0
    .vgpr_spill_count: 0
    .wavefront_size: 32
    .workgroup_processor_mode: 1
  - .args:
      - .address_space:  global
        .offset:         0
        .size:           8
        .value_kind:     global_buffer
      - .address_space:  global
        .offset:         8
        .size:           8
        .value_kind:     global_buffer
      - .offset:         16
        .size:           4
        .value_kind:     by_value
    .group_segment_fixed_size: 0
    .kernarg_segment_align: 8
    .kernarg_segment_size: 20
    .language:       OpenCL C
    .language_version:
      - 2
      - 0
    .max_flat_workgroup_size: 1024
    .name:           _Z25warp_store_guarded_kernelILj1024ELj4ELj64ELN7rocprim17ROCPRIM_304000_NS17warp_store_methodE0EiEvPT3_S4_i
    .private_segment_fixed_size: 0
    .sgpr_count:     0
    .sgpr_spill_count: 0
    .symbol:         _Z25warp_store_guarded_kernelILj1024ELj4ELj64ELN7rocprim17ROCPRIM_304000_NS17warp_store_methodE0EiEvPT3_S4_i.kd
    .uniform_work_group_size: 1
    .uses_dynamic_stack: false
    .vgpr_count:     0
    .vgpr_spill_count: 0
    .wavefront_size: 32
    .workgroup_processor_mode: 1
  - .args:
      - .address_space:  global
        .offset:         0
        .size:           8
        .value_kind:     global_buffer
      - .address_space:  global
        .offset:         8
        .size:           8
        .value_kind:     global_buffer
      - .offset:         16
        .size:           4
        .value_kind:     by_value
    .group_segment_fixed_size: 16384
    .kernarg_segment_align: 8
    .kernarg_segment_size: 20
    .language:       OpenCL C
    .language_version:
      - 2
      - 0
    .max_flat_workgroup_size: 1024
    .name:           _Z25warp_store_guarded_kernelILj1024ELj4ELj32ELN7rocprim17ROCPRIM_304000_NS17warp_store_methodE3EiEvPT3_S4_i
    .private_segment_fixed_size: 0
    .sgpr_count:     10
    .sgpr_spill_count: 0
    .symbol:         _Z25warp_store_guarded_kernelILj1024ELj4ELj32ELN7rocprim17ROCPRIM_304000_NS17warp_store_methodE3EiEvPT3_S4_i.kd
    .uniform_work_group_size: 1
    .uses_dynamic_stack: false
    .vgpr_count:     9
    .vgpr_spill_count: 0
    .wavefront_size: 32
    .workgroup_processor_mode: 1
  - .args:
      - .address_space:  global
        .offset:         0
        .size:           8
        .value_kind:     global_buffer
      - .address_space:  global
        .offset:         8
        .size:           8
        .value_kind:     global_buffer
      - .offset:         16
        .size:           4
        .value_kind:     by_value
    .group_segment_fixed_size: 0
    .kernarg_segment_align: 8
    .kernarg_segment_size: 20
    .language:       OpenCL C
    .language_version:
      - 2
      - 0
    .max_flat_workgroup_size: 1024
    .name:           _Z25warp_store_guarded_kernelILj1024ELj4ELj32ELN7rocprim17ROCPRIM_304000_NS17warp_store_methodE2EiEvPT3_S4_i
    .private_segment_fixed_size: 0
    .sgpr_count:     10
    .sgpr_spill_count: 0
    .symbol:         _Z25warp_store_guarded_kernelILj1024ELj4ELj32ELN7rocprim17ROCPRIM_304000_NS17warp_store_methodE2EiEvPT3_S4_i.kd
    .uniform_work_group_size: 1
    .uses_dynamic_stack: false
    .vgpr_count:     9
    .vgpr_spill_count: 0
    .wavefront_size: 32
    .workgroup_processor_mode: 1
  - .args:
      - .address_space:  global
        .offset:         0
        .size:           8
        .value_kind:     global_buffer
      - .address_space:  global
        .offset:         8
        .size:           8
        .value_kind:     global_buffer
      - .offset:         16
        .size:           4
        .value_kind:     by_value
    .group_segment_fixed_size: 0
    .kernarg_segment_align: 8
    .kernarg_segment_size: 20
    .language:       OpenCL C
    .language_version:
      - 2
      - 0
    .max_flat_workgroup_size: 1024
    .name:           _Z25warp_store_guarded_kernelILj1024ELj4ELj32ELN7rocprim17ROCPRIM_304000_NS17warp_store_methodE1EiEvPT3_S4_i
    .private_segment_fixed_size: 0
    .sgpr_count:     10
    .sgpr_spill_count: 0
    .symbol:         _Z25warp_store_guarded_kernelILj1024ELj4ELj32ELN7rocprim17ROCPRIM_304000_NS17warp_store_methodE1EiEvPT3_S4_i.kd
    .uniform_work_group_size: 1
    .uses_dynamic_stack: false
    .vgpr_count:     8
    .vgpr_spill_count: 0
    .wavefront_size: 32
    .workgroup_processor_mode: 1
  - .args:
      - .address_space:  global
        .offset:         0
        .size:           8
        .value_kind:     global_buffer
      - .address_space:  global
        .offset:         8
        .size:           8
        .value_kind:     global_buffer
      - .offset:         16
        .size:           4
        .value_kind:     by_value
    .group_segment_fixed_size: 0
    .kernarg_segment_align: 8
    .kernarg_segment_size: 20
    .language:       OpenCL C
    .language_version:
      - 2
      - 0
    .max_flat_workgroup_size: 1024
    .name:           _Z25warp_store_guarded_kernelILj1024ELj4ELj32ELN7rocprim17ROCPRIM_304000_NS17warp_store_methodE0EiEvPT3_S4_i
    .private_segment_fixed_size: 0
    .sgpr_count:     10
    .sgpr_spill_count: 0
    .symbol:         _Z25warp_store_guarded_kernelILj1024ELj4ELj32ELN7rocprim17ROCPRIM_304000_NS17warp_store_methodE0EiEvPT3_S4_i.kd
    .uniform_work_group_size: 1
    .uses_dynamic_stack: false
    .vgpr_count:     9
    .vgpr_spill_count: 0
    .wavefront_size: 32
    .workgroup_processor_mode: 1
  - .args:
      - .address_space:  global
        .offset:         0
        .size:           8
        .value_kind:     global_buffer
      - .address_space:  global
        .offset:         8
        .size:           8
        .value_kind:     global_buffer
      - .offset:         16
        .size:           4
        .value_kind:     by_value
    .group_segment_fixed_size: 16384
    .kernarg_segment_align: 8
    .kernarg_segment_size: 20
    .language:       OpenCL C
    .language_version:
      - 2
      - 0
    .max_flat_workgroup_size: 1024
    .name:           _Z25warp_store_guarded_kernelILj1024ELj4ELj8ELN7rocprim17ROCPRIM_304000_NS17warp_store_methodE3EiEvPT3_S4_i
    .private_segment_fixed_size: 0
    .sgpr_count:     10
    .sgpr_spill_count: 0
    .symbol:         _Z25warp_store_guarded_kernelILj1024ELj4ELj8ELN7rocprim17ROCPRIM_304000_NS17warp_store_methodE3EiEvPT3_S4_i.kd
    .uniform_work_group_size: 1
    .uses_dynamic_stack: false
    .vgpr_count:     8
    .vgpr_spill_count: 0
    .wavefront_size: 32
    .workgroup_processor_mode: 1
  - .args:
      - .address_space:  global
        .offset:         0
        .size:           8
        .value_kind:     global_buffer
      - .address_space:  global
        .offset:         8
        .size:           8
        .value_kind:     global_buffer
      - .offset:         16
        .size:           4
        .value_kind:     by_value
    .group_segment_fixed_size: 0
    .kernarg_segment_align: 8
    .kernarg_segment_size: 20
    .language:       OpenCL C
    .language_version:
      - 2
      - 0
    .max_flat_workgroup_size: 1024
    .name:           _Z25warp_store_guarded_kernelILj1024ELj4ELj8ELN7rocprim17ROCPRIM_304000_NS17warp_store_methodE2EiEvPT3_S4_i
    .private_segment_fixed_size: 0
    .sgpr_count:     10
    .sgpr_spill_count: 0
    .symbol:         _Z25warp_store_guarded_kernelILj1024ELj4ELj8ELN7rocprim17ROCPRIM_304000_NS17warp_store_methodE2EiEvPT3_S4_i.kd
    .uniform_work_group_size: 1
    .uses_dynamic_stack: false
    .vgpr_count:     8
    .vgpr_spill_count: 0
    .wavefront_size: 32
    .workgroup_processor_mode: 1
  - .args:
      - .address_space:  global
        .offset:         0
        .size:           8
        .value_kind:     global_buffer
      - .address_space:  global
        .offset:         8
        .size:           8
        .value_kind:     global_buffer
      - .offset:         16
        .size:           4
        .value_kind:     by_value
    .group_segment_fixed_size: 0
    .kernarg_segment_align: 8
    .kernarg_segment_size: 20
    .language:       OpenCL C
    .language_version:
      - 2
      - 0
    .max_flat_workgroup_size: 1024
    .name:           _Z25warp_store_guarded_kernelILj1024ELj4ELj8ELN7rocprim17ROCPRIM_304000_NS17warp_store_methodE1EiEvPT3_S4_i
    .private_segment_fixed_size: 0
    .sgpr_count:     10
    .sgpr_spill_count: 0
    .symbol:         _Z25warp_store_guarded_kernelILj1024ELj4ELj8ELN7rocprim17ROCPRIM_304000_NS17warp_store_methodE1EiEvPT3_S4_i.kd
    .uniform_work_group_size: 1
    .uses_dynamic_stack: false
    .vgpr_count:     8
    .vgpr_spill_count: 0
    .wavefront_size: 32
    .workgroup_processor_mode: 1
  - .args:
      - .address_space:  global
        .offset:         0
        .size:           8
        .value_kind:     global_buffer
      - .address_space:  global
        .offset:         8
        .size:           8
        .value_kind:     global_buffer
      - .offset:         16
        .size:           4
        .value_kind:     by_value
    .group_segment_fixed_size: 0
    .kernarg_segment_align: 8
    .kernarg_segment_size: 20
    .language:       OpenCL C
    .language_version:
      - 2
      - 0
    .max_flat_workgroup_size: 1024
    .name:           _Z25warp_store_guarded_kernelILj1024ELj4ELj8ELN7rocprim17ROCPRIM_304000_NS17warp_store_methodE0EiEvPT3_S4_i
    .private_segment_fixed_size: 0
    .sgpr_count:     10
    .sgpr_spill_count: 0
    .symbol:         _Z25warp_store_guarded_kernelILj1024ELj4ELj8ELN7rocprim17ROCPRIM_304000_NS17warp_store_methodE0EiEvPT3_S4_i.kd
    .uniform_work_group_size: 1
    .uses_dynamic_stack: false
    .vgpr_count:     8
    .vgpr_spill_count: 0
    .wavefront_size: 32
    .workgroup_processor_mode: 1
amdhsa.target:   amdgcn-amd-amdhsa--gfx1100
amdhsa.version:
  - 1
  - 2
...

	.end_amdgpu_metadata
